;; amdgpu-corpus repo=zjin-lcf/HeCBench kind=compiled arch=gfx1250 opt=O3
	.amdgcn_target "amdgcn-amd-amdhsa--gfx1250"
	.amdhsa_code_object_version 6
	.text
	.protected	_Z13render_kernelPhPK7_Sphere6_Planeiii ; -- Begin function _Z13render_kernelPhPK7_Sphere6_Planeiii
	.globl	_Z13render_kernelPhPK7_Sphere6_Planeiii
	.p2align	8
	.type	_Z13render_kernelPhPK7_Sphere6_Planeiii,@function
_Z13render_kernelPhPK7_Sphere6_Planeiii: ; @_Z13render_kernelPhPK7_Sphere6_Planeiii
; %bb.0:
	s_load_b32 s2, s[0:1], 0x44
	s_bfe_u32 s12, ttmp6, 0x4000c
	s_bfe_u32 s13, ttmp6, 0x40010
	s_load_b256 s[4:11], s[0:1], 0x10
	s_add_co_i32 s12, s12, 1
	s_add_co_i32 s13, s13, 1
	s_and_b32 s3, ttmp6, 15
	s_bfe_u32 s14, ttmp6, 0x40004
	s_mul_i32 s12, ttmp9, s12
	s_mul_i32 s13, ttmp7, s13
	s_getreg_b32 s15, hwreg(HW_REG_IB_STS2, 6, 4)
	v_and_b32_e32 v1, 0x3ff, v0
	v_bfe_u32 v0, v0, 10, 10
	s_add_co_i32 s3, s3, s12
	s_add_co_i32 s14, s14, s13
	s_wait_kmcnt 0x0
	s_lshr_b32 s12, s2, 16
	s_and_b32 s2, s2, 0xffff
	s_cmp_eq_u32 s15, 0
	s_cselect_b32 s13, ttmp7, s14
	s_cselect_b32 s3, ttmp9, s3
	v_mad_u32 v0, s13, s12, v0
	v_mad_u32 v1, s3, s2, v1
	s_delay_alu instid0(VALU_DEP_2) | instskip(NEXT) | instid1(VALU_DEP_2)
	v_cmp_gt_i32_e32 vcc_lo, s10, v0
	v_cmp_gt_i32_e64 s2, s11, v1
	s_and_b32 s2, s2, vcc_lo
	s_delay_alu instid0(SALU_CYCLE_1)
	s_and_saveexec_b32 s3, s2
	s_cbranch_execz .LBB0_64
; %bb.1:
	s_clause 0x1
	s_load_b32 s3, s[0:1], 0x30
	s_load_b128 s[20:23], s[0:1], 0x0
	v_mad_u32 v17, v0, s11, v1
	s_wait_kmcnt 0x0
	s_cmp_lt_i32 s3, 1
	s_cbranch_scc1 .LBB0_62
; %bb.2:
	s_clause 0x1
	s_load_b256 s[12:19], s[22:23], 0x0
	s_load_b128 s[24:27], s[22:23], 0x20
	s_cvt_f32_i32 s0, s11
	s_cvt_f32_i32 s1, s10
	s_mul_f32 s36, s5, s8
	s_mul_f32 s2, s8, 0
	v_cvt_f32_i32_e32 v23, v1
	v_cvt_f32_i32_e32 v24, v0
	s_fmac_f32 s36, s4, s7
	v_mov_b64_e32 v[0:1], 0
	v_dual_mov_b32 v22, 0 :: v_dual_mov_b32 v3, 0
	s_delay_alu instid0(SALU_CYCLE_1)
	s_fmac_f32 s36, s6, s9
	s_cvt_f32_u32 s33, s3
	s_mul_f32 s38, s1, 0.5
	s_mov_b32 s37, 0
	s_mov_b64 s[34:35], 0xfe5163ab
                                        ; implicit-def: $vgpr29
	v_mov_b32_e32 v28, v17
	s_wait_kmcnt 0x0
	s_mov_b32 s10, s13
	s_mov_b32 s11, s14
	;; [unrolled: 1-line block ×6, first 2 shown]
	v_mov_b64_e32 v[4:5], s[10:11]
	v_mov_b64_e32 v[6:7], s[28:29]
	;; [unrolled: 1-line block ×3, first 2 shown]
	s_sub_f32 s18, 0, s12
	s_sub_f32 s25, 0, s16
	;; [unrolled: 1-line block ×3, first 2 shown]
	s_mul_f32 s17, s0, 0.5
	v_pk_add_f32 v[4:5], v[4:5], 0 op_sel_hi:[1,0] neg_lo:[1,0] neg_hi:[1,0]
	v_pk_add_f32 v[6:7], v[6:7], 0 op_sel_hi:[1,0] neg_lo:[1,0] neg_hi:[1,0]
	;; [unrolled: 1-line block ×3, first 2 shown]
	s_fmamk_f32 s0, s7, 0x0, s2
	s_mul_f32 s40, s15, s15
	v_pk_mul_f32 v[10:11], v[4:5], v[4:5]
	v_pk_mul_f32 v[12:13], v[6:7], v[6:7]
	;; [unrolled: 1-line block ×3, first 2 shown]
	s_fmamk_f32 s0, s9, 0x0, s0
	s_delay_alu instid0(VALU_DEP_3) | instskip(NEXT) | instid1(VALU_DEP_3)
	v_fma_f32 v2, s18, s18, v10
	v_fma_f32 v10, s25, s25, v12
	s_delay_alu instid0(VALU_DEP_3) | instskip(SKIP_1) | instid1(VALU_DEP_3)
	v_fma_f32 v12, s26, s26, v14
	s_sub_f32 s39, s0, s36
                                        ; implicit-def: $vgpr14
	v_add_f32_e32 v2, v2, v11
	s_delay_alu instid0(VALU_DEP_2) | instskip(NEXT) | instid1(VALU_DEP_2)
	v_dual_add_f32 v10, v10, v13 :: v_dual_add_f32 v11, v12, v15
                                        ; implicit-def: $vgpr12_vgpr13
	v_xor_b32_e32 v25, 0x80000000, v2
	s_delay_alu instid0(VALU_DEP_2) | instskip(NEXT) | instid1(VALU_DEP_3)
	v_xor_b32_e32 v26, 0x80000000, v10
	v_xor_b32_e32 v27, 0x80000000, v11
                                        ; implicit-def: $vgpr10_vgpr11
	s_delay_alu instid0(VALU_DEP_3) | instskip(NEXT) | instid1(VALU_DEP_3)
	v_fmac_f32_e64 v25, s15, s15
	v_fmac_f32_e64 v26, s19, s19
	s_delay_alu instid0(VALU_DEP_3)
	v_fmac_f32_e64 v27, s27, s27
	s_mov_b32 s15, 0x800000
	s_mov_b32 s19, 0xb94c1982
	s_mov_b32 s27, 0x37d75334
	s_branch .LBB0_4
.LBB0_3:                                ;   in Loop: Header=BB0_4 Depth=1
	s_add_co_i32 s37, s37, 1
	s_delay_alu instid0(SALU_CYCLE_1)
	s_cmp_eq_u32 s37, s3
	s_cbranch_scc1 .LBB0_63
.LBB0_4:                                ; =>This Loop Header: Depth=1
                                        ;     Child Loop BB0_7 Depth 2
                                        ;       Child Loop BB0_44 Depth 3
                                        ;         Child Loop BB0_46 Depth 4
	s_cvt_f32_u32 s0, s37
	s_mov_b32 s41, 0
	s_delay_alu instid0(SALU_CYCLE_2) | instskip(SKIP_1) | instid1(VALU_DEP_2)
	v_div_scale_f32 v2, null, s33, s33, s0
	v_div_scale_f32 v18, vcc_lo, s0, s33, s0
	v_rcp_f32_e32 v15, v2
	v_nop
	v_xor_b32_e32 v2, 0x80000000, v2
	s_delay_alu instid0(TRANS32_DEP_1) | instid1(VALU_DEP_1)
	v_fma_f32 v16, v2, v15, 1.0
	s_delay_alu instid0(VALU_DEP_1) | instskip(NEXT) | instid1(VALU_DEP_1)
	v_fmac_f32_e32 v15, v16, v15
	v_mul_f32_e32 v16, v18, v15
	s_delay_alu instid0(VALU_DEP_1) | instskip(NEXT) | instid1(VALU_DEP_1)
	v_fma_f32 v19, v2, v16, v18
	v_fmac_f32_e32 v16, v19, v15
	s_delay_alu instid0(VALU_DEP_1) | instskip(NEXT) | instid1(VALU_DEP_1)
	v_fmac_f32_e32 v18, v2, v16
	v_div_fmas_f32 v2, v18, v15, v16
	s_delay_alu instid0(VALU_DEP_1) | instskip(NEXT) | instid1(VALU_DEP_1)
	v_div_fixup_f32 v2, v2, s33, s0
	v_add_f32_e32 v2, v2, v24
	s_delay_alu instid0(VALU_DEP_1) | instskip(NEXT) | instid1(VALU_DEP_1)
	v_subrev_f32_e32 v2, s38, v2
	v_div_scale_f32 v15, null, s38, s38, -v2
	s_delay_alu instid0(VALU_DEP_1) | instskip(SKIP_1) | instid1(TRANS32_DEP_1)
	v_rcp_f32_e32 v16, v15
	v_nop
	v_fma_f32 v18, -v15, v16, 1.0
	s_delay_alu instid0(VALU_DEP_1) | instskip(SKIP_1) | instid1(VALU_DEP_1)
	v_fmac_f32_e32 v16, v18, v16
	v_div_scale_f32 v18, vcc_lo, -v2, s38, -v2
	v_mul_f32_e32 v19, v18, v16
	s_delay_alu instid0(VALU_DEP_1) | instskip(NEXT) | instid1(VALU_DEP_1)
	v_fma_f32 v20, -v15, v19, v18
	v_fmac_f32_e32 v19, v20, v16
	s_delay_alu instid0(VALU_DEP_1) | instskip(NEXT) | instid1(VALU_DEP_1)
	v_fma_f32 v15, -v15, v19, v18
	v_div_fmas_f32 v15, v15, v16, v19
	s_delay_alu instid0(VALU_DEP_1) | instskip(NEXT) | instid1(VALU_DEP_1)
	v_div_fixup_f32 v16, v15, s38, -v2
	v_mul_f32_e32 v30, v16, v16
	s_branch .LBB0_7
.LBB0_5:                                ;   in Loop: Header=BB0_7 Depth=2
	v_sub_f32_e32 v15, 0x42800000, v47
	s_delay_alu instid0(VALU_DEP_1) | instskip(SKIP_1) | instid1(VALU_DEP_2)
	v_mul_f32_e32 v2, 0x3c800000, v15
	v_fmac_f32_e32 v22, 0x3c800000, v15
	v_pk_add_f32 v[0:1], v[0:1], v[2:3] op_sel_hi:[1,0]
.LBB0_6:                                ;   in Loop: Header=BB0_7 Depth=2
	s_or_b32 exec_lo, exec_lo, s42
	s_add_co_i32 s41, s41, 1
	s_delay_alu instid0(SALU_CYCLE_1)
	s_cmp_eq_u32 s41, s3
	s_cbranch_scc1 .LBB0_3
.LBB0_7:                                ;   Parent Loop BB0_4 Depth=1
                                        ; =>  This Loop Header: Depth=2
                                        ;       Child Loop BB0_44 Depth 3
                                        ;         Child Loop BB0_46 Depth 4
	s_cvt_f32_u32 s0, s41
	s_mov_b32 s2, exec_lo
	s_delay_alu instid0(SALU_CYCLE_2) | instskip(SKIP_1) | instid1(VALU_DEP_2)
	v_div_scale_f32 v2, null, s33, s33, s0
	v_div_scale_f32 v19, vcc_lo, s0, s33, s0
	v_rcp_f32_e32 v15, v2
	v_nop
	v_xor_b32_e32 v2, 0x80000000, v2
	s_delay_alu instid0(TRANS32_DEP_1) | instid1(VALU_DEP_1)
	v_fma_f32 v18, v2, v15, 1.0
	s_delay_alu instid0(VALU_DEP_1) | instskip(NEXT) | instid1(VALU_DEP_1)
	v_fmac_f32_e32 v15, v18, v15
	v_mul_f32_e32 v18, v19, v15
	s_delay_alu instid0(VALU_DEP_1) | instskip(NEXT) | instid1(VALU_DEP_1)
	v_fma_f32 v20, v2, v18, v19
	v_fmac_f32_e32 v18, v20, v15
	s_delay_alu instid0(VALU_DEP_1) | instskip(NEXT) | instid1(VALU_DEP_1)
	v_fmac_f32_e32 v19, v2, v18
	v_div_fmas_f32 v2, v19, v15, v18
	s_delay_alu instid0(VALU_DEP_1) | instskip(NEXT) | instid1(VALU_DEP_1)
	v_div_fixup_f32 v2, v2, s33, s0
	v_add_f32_e32 v2, v2, v23
	s_delay_alu instid0(VALU_DEP_1) | instskip(NEXT) | instid1(VALU_DEP_1)
	v_subrev_f32_e32 v2, s17, v2
	v_div_scale_f32 v15, null, s17, s17, v2
	v_div_scale_f32 v20, vcc_lo, v2, s17, v2
	s_delay_alu instid0(VALU_DEP_2) | instskip(SKIP_1) | instid1(TRANS32_DEP_1)
	v_rcp_f32_e32 v18, v15
	v_nop
	v_fma_f32 v19, -v15, v18, 1.0
	s_delay_alu instid0(VALU_DEP_1) | instskip(NEXT) | instid1(VALU_DEP_1)
	v_fmac_f32_e32 v18, v19, v18
	v_mul_f32_e32 v19, v20, v18
	s_delay_alu instid0(VALU_DEP_1) | instskip(NEXT) | instid1(VALU_DEP_1)
	v_fma_f32 v21, -v15, v19, v20
	v_fmac_f32_e32 v19, v21, v18
	s_delay_alu instid0(VALU_DEP_1) | instskip(NEXT) | instid1(VALU_DEP_1)
	v_fma_f32 v15, -v15, v19, v20
	v_div_fmas_f32 v15, v15, v18, v19
	s_delay_alu instid0(VALU_DEP_1) | instskip(NEXT) | instid1(VALU_DEP_1)
	v_div_fixup_f32 v15, v15, s17, v2
	v_fma_f32 v2, v15, v15, v30
	s_delay_alu instid0(VALU_DEP_1) | instskip(NEXT) | instid1(VALU_DEP_1)
	v_add_f32_e32 v2, 1.0, v2
	v_mul_f32_e32 v18, 0x4f800000, v2
	v_cmp_gt_f32_e32 vcc_lo, 0xf800000, v2
	s_delay_alu instid0(VALU_DEP_2) | instskip(NEXT) | instid1(VALU_DEP_1)
	v_cndmask_b32_e32 v2, v2, v18, vcc_lo
	v_sqrt_f32_e32 v18, v2
	v_nop
	s_delay_alu instid0(TRANS32_DEP_1) | instskip(NEXT) | instid1(VALU_DEP_1)
	v_dual_add_nc_u32 v19, -1, v18 :: v_dual_add_nc_u32 v20, 1, v18
	v_dual_fma_f32 v21, -v19, v18, v2 :: v_dual_fma_f32 v31, -v20, v18, v2
	s_delay_alu instid0(VALU_DEP_1) | instskip(NEXT) | instid1(VALU_DEP_1)
	v_cmp_ge_f32_e64 s0, 0, v21
	v_cndmask_b32_e64 v18, v18, v19, s0
	s_delay_alu instid0(VALU_DEP_3) | instskip(NEXT) | instid1(VALU_DEP_1)
	v_cmp_lt_f32_e64 s0, 0, v31
	v_cndmask_b32_e64 v18, v18, v20, s0
	s_delay_alu instid0(VALU_DEP_1) | instskip(NEXT) | instid1(VALU_DEP_1)
	v_mul_f32_e32 v19, 0x37800000, v18
	v_cndmask_b32_e32 v18, v18, v19, vcc_lo
	v_cmp_class_f32_e64 vcc_lo, v2, 0x260
	s_delay_alu instid0(VALU_DEP_2) | instskip(SKIP_1) | instid1(VALU_DEP_2)
	v_dual_mov_b32 v19, -1.0 :: v_dual_cndmask_b32 v2, v18, v2
	v_mov_b32_e32 v18, v16
	v_cmpx_lt_f32_e64 0x233877aa, |v2|
	s_cbranch_execz .LBB0_9
; %bb.8:                                ;   in Loop: Header=BB0_7 Depth=2
	v_div_scale_f32 v18, null, v2, v2, v15
	v_div_scale_f32 v19, null, v2, v2, v16
	v_div_scale_f32 v20, null, v2, v2, -1.0
	s_delay_alu instid0(VALU_DEP_3) | instskip(NEXT) | instid1(VALU_DEP_2)
	v_rcp_f32_e32 v21, v18
	v_rcp_f32_e32 v31, v19
	v_div_scale_f32 v33, vcc_lo, v15, v2, v15
	s_delay_alu instid0(VALU_DEP_2) | instskip(SKIP_1) | instid1(TRANS32_DEP_3)
	v_rcp_f32_e32 v32, v20
	v_div_scale_f32 v36, s0, v16, v2, v16
	v_fma_f32 v34, -v18, v21, 1.0
	s_delay_alu instid0(TRANS32_DEP_2) | instskip(NEXT) | instid1(TRANS32_DEP_1)
	v_fma_f32 v35, -v19, v31, 1.0
	v_fma_f32 v37, -v20, v32, 1.0
	s_delay_alu instid0(VALU_DEP_2) | instskip(SKIP_1) | instid1(VALU_DEP_2)
	v_dual_fmac_f32 v21, v34, v21 :: v_dual_fmac_f32 v31, v35, v31
	v_div_scale_f32 v34, s1, -1.0, v2, -1.0
	v_dual_fmac_f32 v32, v37, v32 :: v_dual_mul_f32 v37, v36, v31
	s_delay_alu instid0(VALU_DEP_1) | instskip(NEXT) | instid1(VALU_DEP_1)
	v_dual_mul_f32 v35, v33, v21 :: v_dual_mul_f32 v38, v34, v32
	v_dual_fma_f32 v40, -v19, v37, v36 :: v_dual_fma_f32 v39, -v18, v35, v33
	s_delay_alu instid0(VALU_DEP_1) | instskip(NEXT) | instid1(VALU_DEP_1)
	v_dual_fma_f32 v41, -v20, v38, v34 :: v_dual_fmac_f32 v35, v39, v21
	v_dual_fmac_f32 v37, v40, v31 :: v_dual_fmac_f32 v38, v41, v32
	s_delay_alu instid0(VALU_DEP_1) | instskip(NEXT) | instid1(VALU_DEP_2)
	v_dual_fma_f32 v18, -v18, v35, v33 :: v_dual_fma_f32 v19, -v19, v37, v36
	v_fma_f32 v20, -v20, v38, v34
	s_delay_alu instid0(VALU_DEP_2) | instskip(SKIP_1) | instid1(VALU_DEP_3)
	v_div_fmas_f32 v18, v18, v21, v35
	s_mov_b32 vcc_lo, s0
	v_div_fmas_f32 v19, v19, v31, v37
	s_mov_b32 vcc_lo, s1
	s_delay_alu instid0(VALU_DEP_2) | instskip(SKIP_1) | instid1(VALU_DEP_3)
	v_div_fixup_f32 v15, v18, v2, v15
	v_div_fmas_f32 v20, v20, v32, v38
	v_div_fixup_f32 v18, v19, v2, v16
	s_delay_alu instid0(VALU_DEP_2)
	v_div_fixup_f32 v19, v20, v2, -1.0
.LBB0_9:                                ;   in Loop: Header=BB0_7 Depth=2
	s_or_b32 exec_lo, exec_lo, s2
	s_delay_alu instid0(VALU_DEP_1) | instskip(SKIP_1) | instid1(VALU_DEP_1)
	v_pk_mul_f32 v[20:21], v[18:19], v[4:5]
	s_mov_b32 s2, exec_lo
	v_dual_fma_f32 v2, s18, v15, v20 :: v_dual_mov_b32 v20, 0
	s_delay_alu instid0(VALU_DEP_1) | instskip(NEXT) | instid1(VALU_DEP_1)
	v_dual_add_f32 v2, v2, v21 :: v_dual_mov_b32 v21, 0x5bb1a2bc
	v_fma_f32 v31, v2, v2, v25
	s_delay_alu instid0(VALU_DEP_1)
	v_cmpx_lt_f32_e32 0, v31
	s_cbranch_execz .LBB0_15
; %bb.10:                               ;   in Loop: Header=BB0_7 Depth=2
	v_mul_f32_e32 v20, 0x4f800000, v31
	v_cmp_gt_f32_e32 vcc_lo, 0xf800000, v31
	s_delay_alu instid0(VALU_DEP_2) | instskip(NEXT) | instid1(VALU_DEP_1)
	v_cndmask_b32_e32 v20, v31, v20, vcc_lo
	v_sqrt_f32_e32 v21, v20
	v_nop
	s_delay_alu instid0(TRANS32_DEP_1) | instskip(NEXT) | instid1(VALU_DEP_1)
	v_dual_add_nc_u32 v31, -1, v21 :: v_dual_add_nc_u32 v32, 1, v21
	v_dual_fma_f32 v33, -v31, v21, v20 :: v_dual_fma_f32 v34, -v32, v21, v20
	s_delay_alu instid0(VALU_DEP_1) | instskip(NEXT) | instid1(VALU_DEP_1)
	v_cmp_ge_f32_e64 s0, 0, v33
	v_cndmask_b32_e64 v21, v21, v31, s0
	s_delay_alu instid0(VALU_DEP_3) | instskip(NEXT) | instid1(VALU_DEP_1)
	v_cmp_lt_f32_e64 s0, 0, v34
	v_cndmask_b32_e64 v21, v21, v32, s0
	s_delay_alu instid0(VALU_DEP_1) | instskip(NEXT) | instid1(VALU_DEP_1)
	v_mul_f32_e32 v31, 0x37800000, v21
	v_cndmask_b32_e32 v21, v21, v31, vcc_lo
	v_cmp_class_f32_e64 vcc_lo, v20, 0x260
	s_delay_alu instid0(VALU_DEP_2) | instskip(NEXT) | instid1(VALU_DEP_1)
	v_dual_cndmask_b32 v20, v21, v20 :: v_dual_mov_b32 v21, 0x5bb1a2bc
	v_dual_sub_f32 v2, -v2, v20 :: v_dual_mov_b32 v20, 0
	s_delay_alu instid0(VALU_DEP_1) | instskip(SKIP_2) | instid1(SALU_CYCLE_1)
	v_cmp_lt_f32_e32 vcc_lo, 0, v2
	v_cmp_gt_f32_e64 s0, 0x5bb1a2bc, v2
	s_and_b32 s0, vcc_lo, s0
	s_and_saveexec_b32 s4, s0
	s_cbranch_execz .LBB0_14
; %bb.11:                               ;   in Loop: Header=BB0_7 Depth=2
	v_mov_b64_e32 v[12:13], s[10:11]
	v_pk_fma_f32 v[10:11], v[18:19], v[2:3], 0 op_sel_hi:[1,0,0]
	v_fma_f32 v29, v15, v2, 0
	s_mov_b32 s5, exec_lo
	s_delay_alu instid0(VALU_DEP_2) | instskip(NEXT) | instid1(VALU_DEP_1)
	v_pk_add_f32 v[12:13], v[10:11], v[12:13] neg_lo:[0,1] neg_hi:[0,1]
	v_pk_mul_f32 v[20:21], v[12:13], v[12:13]
	s_delay_alu instid0(VALU_DEP_3) | instskip(NEXT) | instid1(VALU_DEP_1)
	v_subrev_f32_e32 v14, s12, v29
	v_fma_f32 v20, v14, v14, v20
	s_delay_alu instid0(VALU_DEP_1) | instskip(NEXT) | instid1(VALU_DEP_1)
	v_add_f32_e32 v20, v21, v20
	v_mul_f32_e32 v21, 0x4f800000, v20
	v_cmp_gt_f32_e32 vcc_lo, 0xf800000, v20
	s_delay_alu instid0(VALU_DEP_2) | instskip(NEXT) | instid1(VALU_DEP_1)
	v_cndmask_b32_e32 v20, v20, v21, vcc_lo
	v_sqrt_f32_e32 v21, v20
	v_nop
	s_delay_alu instid0(TRANS32_DEP_1) | instskip(NEXT) | instid1(VALU_DEP_1)
	v_dual_add_nc_u32 v31, -1, v21 :: v_dual_add_nc_u32 v32, 1, v21
	v_dual_fma_f32 v33, -v31, v21, v20 :: v_dual_fma_f32 v34, -v32, v21, v20
	s_delay_alu instid0(VALU_DEP_1) | instskip(NEXT) | instid1(VALU_DEP_1)
	v_cmp_ge_f32_e64 s0, 0, v33
	v_cndmask_b32_e64 v21, v21, v31, s0
	s_delay_alu instid0(VALU_DEP_3) | instskip(NEXT) | instid1(VALU_DEP_1)
	v_cmp_lt_f32_e64 s0, 0, v34
	v_cndmask_b32_e64 v21, v21, v32, s0
	s_delay_alu instid0(VALU_DEP_1) | instskip(NEXT) | instid1(VALU_DEP_1)
	v_mul_f32_e32 v31, 0x37800000, v21
	v_cndmask_b32_e32 v21, v21, v31, vcc_lo
	v_cmp_class_f32_e64 vcc_lo, v20, 0x260
	s_delay_alu instid0(VALU_DEP_2) | instskip(NEXT) | instid1(VALU_DEP_1)
	v_cndmask_b32_e32 v20, v21, v20, vcc_lo
	v_cmpx_lt_f32_e64 0x233877aa, |v20|
	s_cbranch_execz .LBB0_13
; %bb.12:                               ;   in Loop: Header=BB0_7 Depth=2
	v_div_scale_f32 v21, null, v20, v20, v14
	v_div_scale_f32 v31, null, v20, v20, v13
	;; [unrolled: 1-line block ×3, first 2 shown]
	s_delay_alu instid0(VALU_DEP_3) | instskip(NEXT) | instid1(VALU_DEP_2)
	v_rcp_f32_e32 v33, v21
	v_rcp_f32_e32 v34, v31
	v_div_scale_f32 v36, vcc_lo, v14, v20, v14
	s_delay_alu instid0(VALU_DEP_2) | instskip(SKIP_1) | instid1(TRANS32_DEP_3)
	v_rcp_f32_e32 v35, v32
	v_div_scale_f32 v39, s0, v13, v20, v13
	v_fma_f32 v37, -v21, v33, 1.0
	s_delay_alu instid0(TRANS32_DEP_2) | instskip(NEXT) | instid1(TRANS32_DEP_1)
	v_fma_f32 v38, -v31, v34, 1.0
	v_fma_f32 v40, -v32, v35, 1.0
	s_delay_alu instid0(VALU_DEP_2) | instskip(SKIP_1) | instid1(VALU_DEP_2)
	v_dual_fmac_f32 v33, v37, v33 :: v_dual_fmac_f32 v34, v38, v34
	v_div_scale_f32 v37, s1, v12, v20, v12
	v_dual_fmac_f32 v35, v40, v35 :: v_dual_mul_f32 v40, v39, v34
	s_delay_alu instid0(VALU_DEP_1) | instskip(NEXT) | instid1(VALU_DEP_1)
	v_dual_mul_f32 v38, v36, v33 :: v_dual_mul_f32 v41, v37, v35
	v_dual_fma_f32 v43, -v31, v40, v39 :: v_dual_fma_f32 v42, -v21, v38, v36
	s_delay_alu instid0(VALU_DEP_1) | instskip(NEXT) | instid1(VALU_DEP_1)
	v_dual_fma_f32 v44, -v32, v41, v37 :: v_dual_fmac_f32 v40, v43, v34
	v_dual_fmac_f32 v38, v42, v33 :: v_dual_fmac_f32 v41, v44, v35
	s_delay_alu instid0(VALU_DEP_1) | instskip(NEXT) | instid1(VALU_DEP_2)
	v_dual_fma_f32 v31, -v31, v40, v39 :: v_dual_fma_f32 v21, -v21, v38, v36
	v_fma_f32 v32, -v32, v41, v37
	s_delay_alu instid0(VALU_DEP_2) | instskip(SKIP_1) | instid1(VALU_DEP_3)
	v_div_fmas_f32 v21, v21, v33, v38
	s_mov_b32 vcc_lo, s0
	v_div_fmas_f32 v31, v31, v34, v40
	s_mov_b32 vcc_lo, s1
	s_delay_alu instid0(VALU_DEP_2) | instskip(SKIP_1) | instid1(VALU_DEP_3)
	v_div_fixup_f32 v14, v21, v20, v14
	v_div_fmas_f32 v32, v32, v35, v41
	v_div_fixup_f32 v13, v31, v20, v13
	s_delay_alu instid0(VALU_DEP_2)
	v_div_fixup_f32 v12, v32, v20, v12
.LBB0_13:                               ;   in Loop: Header=BB0_7 Depth=2
	s_or_b32 exec_lo, exec_lo, s5
	v_dual_mov_b32 v20, 1 :: v_dual_mov_b32 v21, v2
.LBB0_14:                               ;   in Loop: Header=BB0_7 Depth=2
	s_or_b32 exec_lo, exec_lo, s4
.LBB0_15:                               ;   in Loop: Header=BB0_7 Depth=2
	s_delay_alu instid0(SALU_CYCLE_1) | instskip(SKIP_2) | instid1(VALU_DEP_1)
	s_or_b32 exec_lo, exec_lo, s2
	v_pk_mul_f32 v[32:33], v[18:19], v[6:7]
	s_mov_b32 s2, exec_lo
	v_fma_f32 v2, s25, v15, v32
	s_delay_alu instid0(VALU_DEP_1) | instskip(NEXT) | instid1(VALU_DEP_1)
	v_add_f32_e32 v2, v2, v33
	v_fma_f32 v31, v2, v2, v26
	s_delay_alu instid0(VALU_DEP_1)
	v_cmpx_lt_f32_e32 0, v31
	s_cbranch_execz .LBB0_21
; %bb.16:                               ;   in Loop: Header=BB0_7 Depth=2
	v_mul_f32_e32 v32, 0x4f800000, v31
	v_cmp_gt_f32_e32 vcc_lo, 0xf800000, v31
	s_delay_alu instid0(VALU_DEP_2) | instskip(NEXT) | instid1(VALU_DEP_1)
	v_cndmask_b32_e32 v31, v31, v32, vcc_lo
	v_sqrt_f32_e32 v32, v31
	v_nop
	s_delay_alu instid0(TRANS32_DEP_1) | instskip(NEXT) | instid1(VALU_DEP_1)
	v_dual_add_nc_u32 v33, -1, v32 :: v_dual_add_nc_u32 v34, 1, v32
	v_fma_f32 v35, -v33, v32, v31
	s_delay_alu instid0(VALU_DEP_1) | instskip(NEXT) | instid1(VALU_DEP_1)
	v_cmp_ge_f32_e64 s0, 0, v35
	v_dual_fma_f32 v36, -v34, v32, v31 :: v_dual_cndmask_b32 v32, v32, v33, s0
	s_delay_alu instid0(VALU_DEP_1) | instskip(NEXT) | instid1(VALU_DEP_1)
	v_cmp_lt_f32_e64 s0, 0, v36
	v_cndmask_b32_e64 v32, v32, v34, s0
	s_delay_alu instid0(VALU_DEP_1) | instskip(NEXT) | instid1(VALU_DEP_1)
	v_mul_f32_e32 v33, 0x37800000, v32
	v_cndmask_b32_e32 v32, v32, v33, vcc_lo
	v_cmp_class_f32_e64 vcc_lo, v31, 0x260
	s_delay_alu instid0(VALU_DEP_2) | instskip(NEXT) | instid1(VALU_DEP_1)
	v_cndmask_b32_e32 v31, v32, v31, vcc_lo
	v_sub_f32_e64 v2, -v2, v31
	s_delay_alu instid0(VALU_DEP_1) | instskip(SKIP_2) | instid1(SALU_CYCLE_1)
	v_cmp_lt_f32_e32 vcc_lo, 0, v2
	v_cmp_lt_f32_e64 s0, v2, v21
	s_and_b32 s0, vcc_lo, s0
	s_and_saveexec_b32 s4, s0
	s_cbranch_execz .LBB0_20
; %bb.17:                               ;   in Loop: Header=BB0_7 Depth=2
	v_mov_b64_e32 v[12:13], s[28:29]
	v_pk_fma_f32 v[10:11], v[18:19], v[2:3], 0 op_sel_hi:[1,0,0]
	v_fma_f32 v29, v15, v2, 0
	s_mov_b32 s5, exec_lo
	s_delay_alu instid0(VALU_DEP_2) | instskip(NEXT) | instid1(VALU_DEP_1)
	v_pk_add_f32 v[12:13], v[10:11], v[12:13] neg_lo:[0,1] neg_hi:[0,1]
	v_pk_mul_f32 v[20:21], v[12:13], v[12:13]
	s_delay_alu instid0(VALU_DEP_3) | instskip(NEXT) | instid1(VALU_DEP_1)
	v_subrev_f32_e32 v14, s16, v29
	v_fma_f32 v20, v14, v14, v20
	s_delay_alu instid0(VALU_DEP_1) | instskip(NEXT) | instid1(VALU_DEP_1)
	v_add_f32_e32 v20, v21, v20
	v_mul_f32_e32 v21, 0x4f800000, v20
	v_cmp_gt_f32_e32 vcc_lo, 0xf800000, v20
	s_delay_alu instid0(VALU_DEP_2) | instskip(NEXT) | instid1(VALU_DEP_1)
	v_cndmask_b32_e32 v20, v20, v21, vcc_lo
	v_sqrt_f32_e32 v21, v20
	v_nop
	s_delay_alu instid0(TRANS32_DEP_1) | instskip(NEXT) | instid1(VALU_DEP_1)
	v_dual_add_nc_u32 v31, -1, v21 :: v_dual_add_nc_u32 v32, 1, v21
	v_dual_fma_f32 v33, -v31, v21, v20 :: v_dual_fma_f32 v34, -v32, v21, v20
	s_delay_alu instid0(VALU_DEP_1) | instskip(NEXT) | instid1(VALU_DEP_1)
	v_cmp_ge_f32_e64 s0, 0, v33
	v_cndmask_b32_e64 v21, v21, v31, s0
	s_delay_alu instid0(VALU_DEP_3) | instskip(NEXT) | instid1(VALU_DEP_1)
	v_cmp_lt_f32_e64 s0, 0, v34
	v_cndmask_b32_e64 v21, v21, v32, s0
	s_delay_alu instid0(VALU_DEP_1) | instskip(NEXT) | instid1(VALU_DEP_1)
	v_mul_f32_e32 v31, 0x37800000, v21
	v_cndmask_b32_e32 v21, v21, v31, vcc_lo
	v_cmp_class_f32_e64 vcc_lo, v20, 0x260
	s_delay_alu instid0(VALU_DEP_2) | instskip(NEXT) | instid1(VALU_DEP_1)
	v_cndmask_b32_e32 v20, v21, v20, vcc_lo
	v_cmpx_lt_f32_e64 0x233877aa, |v20|
	s_cbranch_execz .LBB0_19
; %bb.18:                               ;   in Loop: Header=BB0_7 Depth=2
	v_div_scale_f32 v21, null, v20, v20, v14
	v_div_scale_f32 v31, null, v20, v20, v13
	;; [unrolled: 1-line block ×3, first 2 shown]
	s_delay_alu instid0(VALU_DEP_3) | instskip(NEXT) | instid1(VALU_DEP_2)
	v_rcp_f32_e32 v33, v21
	v_rcp_f32_e32 v34, v31
	v_div_scale_f32 v36, vcc_lo, v14, v20, v14
	s_delay_alu instid0(VALU_DEP_2) | instskip(SKIP_1) | instid1(TRANS32_DEP_3)
	v_rcp_f32_e32 v35, v32
	v_div_scale_f32 v39, s0, v13, v20, v13
	v_fma_f32 v37, -v21, v33, 1.0
	s_delay_alu instid0(TRANS32_DEP_2) | instskip(NEXT) | instid1(TRANS32_DEP_1)
	v_fma_f32 v38, -v31, v34, 1.0
	v_fma_f32 v40, -v32, v35, 1.0
	s_delay_alu instid0(VALU_DEP_2) | instskip(SKIP_1) | instid1(VALU_DEP_2)
	v_dual_fmac_f32 v33, v37, v33 :: v_dual_fmac_f32 v34, v38, v34
	v_div_scale_f32 v37, s1, v12, v20, v12
	v_dual_fmac_f32 v35, v40, v35 :: v_dual_mul_f32 v40, v39, v34
	s_delay_alu instid0(VALU_DEP_1) | instskip(NEXT) | instid1(VALU_DEP_1)
	v_dual_mul_f32 v38, v36, v33 :: v_dual_mul_f32 v41, v37, v35
	v_dual_fma_f32 v43, -v31, v40, v39 :: v_dual_fma_f32 v42, -v21, v38, v36
	s_delay_alu instid0(VALU_DEP_1) | instskip(NEXT) | instid1(VALU_DEP_1)
	v_dual_fma_f32 v44, -v32, v41, v37 :: v_dual_fmac_f32 v40, v43, v34
	v_dual_fmac_f32 v38, v42, v33 :: v_dual_fmac_f32 v41, v44, v35
	s_delay_alu instid0(VALU_DEP_1) | instskip(NEXT) | instid1(VALU_DEP_2)
	v_dual_fma_f32 v31, -v31, v40, v39 :: v_dual_fma_f32 v21, -v21, v38, v36
	v_fma_f32 v32, -v32, v41, v37
	s_delay_alu instid0(VALU_DEP_2) | instskip(SKIP_1) | instid1(VALU_DEP_3)
	v_div_fmas_f32 v21, v21, v33, v38
	s_mov_b32 vcc_lo, s0
	v_div_fmas_f32 v31, v31, v34, v40
	s_mov_b32 vcc_lo, s1
	s_delay_alu instid0(VALU_DEP_2) | instskip(SKIP_1) | instid1(VALU_DEP_3)
	v_div_fixup_f32 v14, v21, v20, v14
	v_div_fmas_f32 v32, v32, v35, v41
	v_div_fixup_f32 v13, v31, v20, v13
	s_delay_alu instid0(VALU_DEP_2)
	v_div_fixup_f32 v12, v32, v20, v12
.LBB0_19:                               ;   in Loop: Header=BB0_7 Depth=2
	s_or_b32 exec_lo, exec_lo, s5
	v_dual_mov_b32 v20, 1 :: v_dual_mov_b32 v21, v2
.LBB0_20:                               ;   in Loop: Header=BB0_7 Depth=2
	s_or_b32 exec_lo, exec_lo, s4
.LBB0_21:                               ;   in Loop: Header=BB0_7 Depth=2
	s_delay_alu instid0(SALU_CYCLE_1) | instskip(SKIP_2) | instid1(VALU_DEP_1)
	s_or_b32 exec_lo, exec_lo, s2
	v_pk_mul_f32 v[32:33], v[18:19], v[8:9]
	s_mov_b32 s2, exec_lo
	v_fma_f32 v2, s26, v15, v32
	s_delay_alu instid0(VALU_DEP_1) | instskip(NEXT) | instid1(VALU_DEP_1)
	v_add_f32_e32 v2, v2, v33
	v_fma_f32 v31, v2, v2, v27
	s_delay_alu instid0(VALU_DEP_1)
	v_cmpx_lt_f32_e32 0, v31
	s_cbranch_execz .LBB0_27
; %bb.22:                               ;   in Loop: Header=BB0_7 Depth=2
	v_mul_f32_e32 v32, 0x4f800000, v31
	v_cmp_gt_f32_e32 vcc_lo, 0xf800000, v31
	s_delay_alu instid0(VALU_DEP_2) | instskip(NEXT) | instid1(VALU_DEP_1)
	v_cndmask_b32_e32 v31, v31, v32, vcc_lo
	v_sqrt_f32_e32 v32, v31
	v_nop
	s_delay_alu instid0(TRANS32_DEP_1) | instskip(NEXT) | instid1(VALU_DEP_1)
	v_dual_add_nc_u32 v33, -1, v32 :: v_dual_add_nc_u32 v34, 1, v32
	v_fma_f32 v35, -v33, v32, v31
	s_delay_alu instid0(VALU_DEP_1) | instskip(NEXT) | instid1(VALU_DEP_1)
	v_cmp_ge_f32_e64 s0, 0, v35
	v_dual_fma_f32 v36, -v34, v32, v31 :: v_dual_cndmask_b32 v32, v32, v33, s0
	s_delay_alu instid0(VALU_DEP_1) | instskip(NEXT) | instid1(VALU_DEP_1)
	v_cmp_lt_f32_e64 s0, 0, v36
	v_cndmask_b32_e64 v32, v32, v34, s0
	s_delay_alu instid0(VALU_DEP_1) | instskip(NEXT) | instid1(VALU_DEP_1)
	v_mul_f32_e32 v33, 0x37800000, v32
	v_cndmask_b32_e32 v32, v32, v33, vcc_lo
	v_cmp_class_f32_e64 vcc_lo, v31, 0x260
	s_delay_alu instid0(VALU_DEP_2) | instskip(NEXT) | instid1(VALU_DEP_1)
	v_cndmask_b32_e32 v31, v32, v31, vcc_lo
	v_sub_f32_e64 v2, -v2, v31
	s_delay_alu instid0(VALU_DEP_1) | instskip(SKIP_2) | instid1(SALU_CYCLE_1)
	v_cmp_lt_f32_e32 vcc_lo, 0, v2
	v_cmp_lt_f32_e64 s0, v2, v21
	s_and_b32 s0, vcc_lo, s0
	s_and_saveexec_b32 s4, s0
	s_cbranch_execz .LBB0_26
; %bb.23:                               ;   in Loop: Header=BB0_7 Depth=2
	v_mov_b64_e32 v[12:13], s[30:31]
	v_pk_fma_f32 v[10:11], v[18:19], v[2:3], 0 op_sel_hi:[1,0,0]
	v_fma_f32 v29, v15, v2, 0
	s_mov_b32 s5, exec_lo
	s_delay_alu instid0(VALU_DEP_2) | instskip(NEXT) | instid1(VALU_DEP_1)
	v_pk_add_f32 v[12:13], v[10:11], v[12:13] neg_lo:[0,1] neg_hi:[0,1]
	v_pk_mul_f32 v[20:21], v[12:13], v[12:13]
	s_delay_alu instid0(VALU_DEP_3) | instskip(NEXT) | instid1(VALU_DEP_1)
	v_subrev_f32_e32 v14, s24, v29
	v_fma_f32 v20, v14, v14, v20
	s_delay_alu instid0(VALU_DEP_1) | instskip(NEXT) | instid1(VALU_DEP_1)
	v_add_f32_e32 v20, v21, v20
	v_mul_f32_e32 v21, 0x4f800000, v20
	v_cmp_gt_f32_e32 vcc_lo, 0xf800000, v20
	s_delay_alu instid0(VALU_DEP_2) | instskip(NEXT) | instid1(VALU_DEP_1)
	v_cndmask_b32_e32 v20, v20, v21, vcc_lo
	v_sqrt_f32_e32 v21, v20
	v_nop
	s_delay_alu instid0(TRANS32_DEP_1) | instskip(NEXT) | instid1(VALU_DEP_1)
	v_dual_add_nc_u32 v31, -1, v21 :: v_dual_add_nc_u32 v32, 1, v21
	v_dual_fma_f32 v33, -v31, v21, v20 :: v_dual_fma_f32 v34, -v32, v21, v20
	s_delay_alu instid0(VALU_DEP_1) | instskip(NEXT) | instid1(VALU_DEP_1)
	v_cmp_ge_f32_e64 s0, 0, v33
	v_cndmask_b32_e64 v21, v21, v31, s0
	s_delay_alu instid0(VALU_DEP_3) | instskip(NEXT) | instid1(VALU_DEP_1)
	v_cmp_lt_f32_e64 s0, 0, v34
	v_cndmask_b32_e64 v21, v21, v32, s0
	s_delay_alu instid0(VALU_DEP_1) | instskip(NEXT) | instid1(VALU_DEP_1)
	v_mul_f32_e32 v31, 0x37800000, v21
	v_cndmask_b32_e32 v21, v21, v31, vcc_lo
	v_cmp_class_f32_e64 vcc_lo, v20, 0x260
	s_delay_alu instid0(VALU_DEP_2) | instskip(NEXT) | instid1(VALU_DEP_1)
	v_cndmask_b32_e32 v20, v21, v20, vcc_lo
	v_cmpx_lt_f32_e64 0x233877aa, |v20|
	s_cbranch_execz .LBB0_25
; %bb.24:                               ;   in Loop: Header=BB0_7 Depth=2
	v_div_scale_f32 v21, null, v20, v20, v14
	v_div_scale_f32 v31, null, v20, v20, v13
	;; [unrolled: 1-line block ×3, first 2 shown]
	s_delay_alu instid0(VALU_DEP_3) | instskip(NEXT) | instid1(VALU_DEP_2)
	v_rcp_f32_e32 v33, v21
	v_rcp_f32_e32 v34, v31
	v_div_scale_f32 v36, vcc_lo, v14, v20, v14
	s_delay_alu instid0(VALU_DEP_2) | instskip(SKIP_1) | instid1(TRANS32_DEP_3)
	v_rcp_f32_e32 v35, v32
	v_div_scale_f32 v39, s0, v13, v20, v13
	v_fma_f32 v37, -v21, v33, 1.0
	s_delay_alu instid0(TRANS32_DEP_2) | instskip(NEXT) | instid1(TRANS32_DEP_1)
	v_fma_f32 v38, -v31, v34, 1.0
	v_fma_f32 v40, -v32, v35, 1.0
	s_delay_alu instid0(VALU_DEP_2) | instskip(SKIP_1) | instid1(VALU_DEP_2)
	v_dual_fmac_f32 v33, v37, v33 :: v_dual_fmac_f32 v34, v38, v34
	v_div_scale_f32 v37, s1, v12, v20, v12
	v_dual_fmac_f32 v35, v40, v35 :: v_dual_mul_f32 v40, v39, v34
	s_delay_alu instid0(VALU_DEP_1) | instskip(NEXT) | instid1(VALU_DEP_1)
	v_dual_mul_f32 v38, v36, v33 :: v_dual_mul_f32 v41, v37, v35
	v_dual_fma_f32 v43, -v31, v40, v39 :: v_dual_fma_f32 v42, -v21, v38, v36
	s_delay_alu instid0(VALU_DEP_1) | instskip(NEXT) | instid1(VALU_DEP_1)
	v_dual_fma_f32 v44, -v32, v41, v37 :: v_dual_fmac_f32 v40, v43, v34
	v_dual_fmac_f32 v38, v42, v33 :: v_dual_fmac_f32 v41, v44, v35
	s_delay_alu instid0(VALU_DEP_1) | instskip(NEXT) | instid1(VALU_DEP_2)
	v_dual_fma_f32 v31, -v31, v40, v39 :: v_dual_fma_f32 v21, -v21, v38, v36
	v_fma_f32 v32, -v32, v41, v37
	s_delay_alu instid0(VALU_DEP_2) | instskip(SKIP_1) | instid1(VALU_DEP_3)
	v_div_fmas_f32 v21, v21, v33, v38
	s_mov_b32 vcc_lo, s0
	v_div_fmas_f32 v31, v31, v34, v40
	s_mov_b32 vcc_lo, s1
	s_delay_alu instid0(VALU_DEP_2) | instskip(SKIP_1) | instid1(VALU_DEP_3)
	v_div_fixup_f32 v14, v21, v20, v14
	v_div_fmas_f32 v32, v32, v35, v41
	v_div_fixup_f32 v13, v31, v20, v13
	s_delay_alu instid0(VALU_DEP_2)
	v_div_fixup_f32 v12, v32, v20, v12
.LBB0_25:                               ;   in Loop: Header=BB0_7 Depth=2
	s_or_b32 exec_lo, exec_lo, s5
	v_dual_mov_b32 v20, 1 :: v_dual_mov_b32 v21, v2
.LBB0_26:                               ;   in Loop: Header=BB0_7 Depth=2
	s_or_b32 exec_lo, exec_lo, s4
.LBB0_27:                               ;   in Loop: Header=BB0_7 Depth=2
	s_delay_alu instid0(SALU_CYCLE_1) | instskip(SKIP_2) | instid1(VALU_DEP_1)
	s_or_b32 exec_lo, exec_lo, s2
	v_mov_b64_e32 v[32:33], s[8:9]
	s_mov_b32 s1, exec_lo
	v_pk_mul_f32 v[32:33], v[32:33], v[18:19]
	s_delay_alu instid0(VALU_DEP_1) | instskip(NEXT) | instid1(VALU_DEP_1)
	v_fma_f32 v2, s7, v15, v32
	v_add_f32_e32 v2, v2, v33
	s_delay_alu instid0(VALU_DEP_1)
	v_cmpx_ngt_f32_e64 0x233877aa, |v2|
	s_cbranch_execz .LBB0_31
; %bb.28:                               ;   in Loop: Header=BB0_7 Depth=2
	v_div_scale_f32 v31, null, v2, v2, -s39
	v_div_scale_f32 v34, vcc_lo, -s39, v2, -s39
	s_delay_alu instid0(VALU_DEP_2) | instskip(SKIP_1) | instid1(TRANS32_DEP_1)
	v_rcp_f32_e32 v32, v31
	v_nop
	v_fma_f32 v33, -v31, v32, 1.0
	s_delay_alu instid0(VALU_DEP_1) | instskip(NEXT) | instid1(VALU_DEP_1)
	v_fmac_f32_e32 v32, v33, v32
	v_mul_f32_e32 v33, v34, v32
	s_delay_alu instid0(VALU_DEP_1) | instskip(NEXT) | instid1(VALU_DEP_1)
	v_fma_f32 v35, -v31, v33, v34
	v_fmac_f32_e32 v33, v35, v32
	s_delay_alu instid0(VALU_DEP_1) | instskip(NEXT) | instid1(VALU_DEP_1)
	v_fma_f32 v31, -v31, v33, v34
	v_div_fmas_f32 v31, v31, v32, v33
	s_delay_alu instid0(VALU_DEP_1) | instskip(NEXT) | instid1(VALU_DEP_1)
	v_div_fixup_f32 v2, v31, v2, -s39
	v_cmp_lt_f32_e32 vcc_lo, 0, v2
	v_cmp_lt_f32_e64 s0, v2, v21
	s_and_b32 s2, vcc_lo, s0
	s_delay_alu instid0(SALU_CYCLE_1)
	s_and_saveexec_b32 s0, s2
; %bb.29:                               ;   in Loop: Header=BB0_7 Depth=2
	v_mov_b64_e32 v[12:13], s[8:9]
	v_pk_fma_f32 v[10:11], v[18:19], v[2:3], 0 op_sel_hi:[1,0,0]
	v_fma_f32 v29, v15, v2, 0
	v_dual_mov_b32 v20, 1 :: v_dual_mov_b32 v14, s7
; %bb.30:                               ;   in Loop: Header=BB0_7 Depth=2
	s_or_b32 exec_lo, exec_lo, s0
.LBB0_31:                               ;   in Loop: Header=BB0_7 Depth=2
	s_delay_alu instid0(SALU_CYCLE_1) | instskip(NEXT) | instid1(SALU_CYCLE_1)
	s_or_b32 exec_lo, exec_lo, s1
	s_mov_b32 s42, exec_lo
	s_delay_alu instid0(VALU_DEP_1)
	v_cmpx_ne_u32_e32 0, v20
	s_cbranch_execz .LBB0_6
; %bb.32:                               ;   in Loop: Header=BB0_7 Depth=2
	v_dual_mov_b32 v20, 0 :: v_dual_mov_b32 v15, 1.0
	s_mov_b32 s0, exec_lo
	s_delay_alu instid0(VALU_DEP_1)
	v_mov_b32_e32 v21, v20
	v_cmpx_ngt_f32_e64 0x3f19999a, |v14|
	s_cbranch_execz .LBB0_38
; %bb.33:                               ;   in Loop: Header=BB0_7 Depth=2
	v_dual_mov_b32 v20, 0 :: v_dual_mov_b32 v21, 1.0
	v_mov_b32_e32 v15, 0
	s_mov_b32 s1, exec_lo
	v_cmpx_ngt_f32_e64 0x3f19999a, |v12|
	s_cbranch_execz .LBB0_37
; %bb.34:                               ;   in Loop: Header=BB0_7 Depth=2
	v_dual_mov_b32 v21, 0 :: v_dual_mov_b32 v20, 1.0
	v_mov_b32_e32 v15, 0
	s_mov_b32 s2, exec_lo
	v_cmpx_ngt_f32_e64 0x3f19999a, |v13|
; %bb.35:                               ;   in Loop: Header=BB0_7 Depth=2
	v_dual_mov_b32 v15, 1.0 :: v_dual_mov_b32 v20, 0
; %bb.36:                               ;   in Loop: Header=BB0_7 Depth=2
	s_or_b32 exec_lo, exec_lo, s2
.LBB0_37:                               ;   in Loop: Header=BB0_7 Depth=2
	s_delay_alu instid0(SALU_CYCLE_1)
	s_or_b32 exec_lo, exec_lo, s1
.LBB0_38:                               ;   in Loop: Header=BB0_7 Depth=2
	s_delay_alu instid0(SALU_CYCLE_1) | instskip(NEXT) | instid1(VALU_DEP_1)
	s_or_b32 exec_lo, exec_lo, s0
	v_dual_mov_b32 v18, v20 :: v_dual_mov_b32 v19, v13
	v_pk_mul_f32 v[32:33], v[12:13], v[20:21]
	v_dual_mov_b32 v36, v15 :: v_dual_mov_b32 v37, v14
	s_mov_b32 s2, exec_lo
	s_delay_alu instid0(VALU_DEP_3) | instskip(NEXT) | instid1(VALU_DEP_3)
	v_pk_mul_f32 v[18:19], v[14:15], v[18:19]
	v_dual_mov_b32 v34, v33 :: v_dual_mov_b32 v20, v12
	s_delay_alu instid0(VALU_DEP_2) | instskip(NEXT) | instid1(VALU_DEP_2)
	v_dual_mov_b32 v33, v19 :: v_dual_mov_b32 v35, v18
	v_pk_mul_f32 v[20:21], v[20:21], v[36:37]
	s_delay_alu instid0(VALU_DEP_2) | instskip(NEXT) | instid1(VALU_DEP_2)
	v_pk_add_f32 v[18:19], v[34:35], v[32:33] neg_lo:[0,1] neg_hi:[0,1]
	v_sub_f32_e32 v21, v20, v21
	s_delay_alu instid0(VALU_DEP_2) | instskip(NEXT) | instid1(VALU_DEP_1)
	v_pk_mul_f32 v[32:33], v[18:19], v[18:19]
	v_add_f32_e32 v2, v32, v33
	s_delay_alu instid0(VALU_DEP_1) | instskip(NEXT) | instid1(VALU_DEP_1)
	v_fmac_f32_e32 v2, v21, v21
	v_mul_f32_e32 v15, 0x4f800000, v2
	v_cmp_gt_f32_e32 vcc_lo, 0xf800000, v2
	s_delay_alu instid0(VALU_DEP_2) | instskip(NEXT) | instid1(VALU_DEP_1)
	v_cndmask_b32_e32 v2, v2, v15, vcc_lo
	v_sqrt_f32_e32 v15, v2
	v_nop
	s_delay_alu instid0(TRANS32_DEP_1) | instskip(NEXT) | instid1(VALU_DEP_1)
	v_dual_add_nc_u32 v20, -1, v15 :: v_dual_add_nc_u32 v31, 1, v15
	v_dual_fma_f32 v32, -v20, v15, v2 :: v_dual_fma_f32 v33, -v31, v15, v2
	s_delay_alu instid0(VALU_DEP_1) | instskip(NEXT) | instid1(VALU_DEP_1)
	v_cmp_ge_f32_e64 s0, 0, v32
	v_cndmask_b32_e64 v15, v15, v20, s0
	s_delay_alu instid0(VALU_DEP_3) | instskip(NEXT) | instid1(VALU_DEP_1)
	v_cmp_lt_f32_e64 s0, 0, v33
	v_cndmask_b32_e64 v15, v15, v31, s0
	s_delay_alu instid0(VALU_DEP_1) | instskip(NEXT) | instid1(VALU_DEP_1)
	v_mul_f32_e32 v20, 0x37800000, v15
	v_cndmask_b32_e32 v15, v15, v20, vcc_lo
	v_cmp_class_f32_e64 vcc_lo, v2, 0x260
	s_delay_alu instid0(VALU_DEP_2) | instskip(NEXT) | instid1(VALU_DEP_1)
	v_cndmask_b32_e32 v2, v15, v2, vcc_lo
	v_cmpx_lt_f32_e64 0x233877aa, |v2|
	s_cbranch_execz .LBB0_40
; %bb.39:                               ;   in Loop: Header=BB0_7 Depth=2
	v_div_scale_f32 v15, null, v2, v2, v19
	v_div_scale_f32 v20, null, v2, v2, v18
	;; [unrolled: 1-line block ×3, first 2 shown]
	s_delay_alu instid0(VALU_DEP_3) | instskip(NEXT) | instid1(VALU_DEP_2)
	v_rcp_f32_e32 v32, v15
	v_rcp_f32_e32 v33, v20
	v_div_scale_f32 v35, vcc_lo, v19, v2, v19
	s_delay_alu instid0(VALU_DEP_2) | instskip(SKIP_1) | instid1(TRANS32_DEP_3)
	v_rcp_f32_e32 v34, v31
	v_div_scale_f32 v38, s0, v18, v2, v18
	v_fma_f32 v36, -v15, v32, 1.0
	s_delay_alu instid0(TRANS32_DEP_2) | instskip(NEXT) | instid1(TRANS32_DEP_1)
	v_fma_f32 v37, -v20, v33, 1.0
	v_fma_f32 v39, -v31, v34, 1.0
	s_delay_alu instid0(VALU_DEP_2) | instskip(SKIP_1) | instid1(VALU_DEP_2)
	v_dual_fmac_f32 v32, v36, v32 :: v_dual_fmac_f32 v33, v37, v33
	v_div_scale_f32 v36, s1, v21, v2, v21
	v_dual_fmac_f32 v34, v39, v34 :: v_dual_mul_f32 v39, v38, v33
	s_delay_alu instid0(VALU_DEP_1) | instskip(NEXT) | instid1(VALU_DEP_1)
	v_dual_mul_f32 v37, v35, v32 :: v_dual_mul_f32 v40, v36, v34
	v_dual_fma_f32 v42, -v20, v39, v38 :: v_dual_fma_f32 v41, -v15, v37, v35
	s_delay_alu instid0(VALU_DEP_1) | instskip(NEXT) | instid1(VALU_DEP_1)
	v_dual_fma_f32 v43, -v31, v40, v36 :: v_dual_fmac_f32 v39, v42, v33
	v_dual_fmac_f32 v37, v41, v32 :: v_dual_fmac_f32 v40, v43, v34
	s_delay_alu instid0(VALU_DEP_1) | instskip(NEXT) | instid1(VALU_DEP_2)
	v_dual_fma_f32 v20, -v20, v39, v38 :: v_dual_fma_f32 v15, -v15, v37, v35
	v_fma_f32 v31, -v31, v40, v36
	s_delay_alu instid0(VALU_DEP_2) | instskip(SKIP_1) | instid1(VALU_DEP_3)
	v_div_fmas_f32 v15, v15, v32, v37
	s_mov_b32 vcc_lo, s0
	v_div_fmas_f32 v20, v20, v33, v39
	s_mov_b32 vcc_lo, s1
	s_delay_alu instid0(VALU_DEP_2) | instskip(SKIP_1) | instid1(VALU_DEP_3)
	v_div_fixup_f32 v19, v15, v2, v19
	v_div_fmas_f32 v31, v31, v34, v40
	v_div_fixup_f32 v18, v20, v2, v18
	s_delay_alu instid0(VALU_DEP_2)
	v_div_fixup_f32 v21, v31, v2, v21
.LBB0_40:                               ;   in Loop: Header=BB0_7 Depth=2
	s_or_b32 exec_lo, exec_lo, s2
	s_delay_alu instid0(VALU_DEP_1) | instskip(SKIP_2) | instid1(VALU_DEP_3)
	v_dual_mov_b32 v32, v21 :: v_dual_mov_b32 v33, v19
	v_dual_mov_b32 v34, v13 :: v_dual_mov_b32 v35, v14
	;; [unrolled: 1-line block ×3, first 2 shown]
	v_pk_mul_f32 v[32:33], v[12:13], v[32:33]
	v_dual_mov_b32 v38, v12 :: v_dual_mov_b32 v39, v14
	s_mov_b32 s2, exec_lo
	s_delay_alu instid0(VALU_DEP_3) | instskip(NEXT) | instid1(VALU_DEP_3)
	v_pk_mul_f32 v[34:35], v[34:35], v[36:37]
	v_sub_f32_e32 v31, v32, v33
	s_delay_alu instid0(VALU_DEP_3) | instskip(NEXT) | instid1(VALU_DEP_3)
	v_pk_mul_f32 v[36:37], v[38:39], v[18:19]
	v_sub_f32_e32 v32, v34, v35
	s_delay_alu instid0(VALU_DEP_2) | instskip(NEXT) | instid1(VALU_DEP_1)
	v_dual_mul_f32 v2, v31, v31 :: v_dual_sub_f32 v33, v37, v36
	v_fmac_f32_e32 v2, v32, v32
	s_delay_alu instid0(VALU_DEP_1) | instskip(NEXT) | instid1(VALU_DEP_1)
	v_fmac_f32_e32 v2, v33, v33
	v_mul_f32_e32 v15, 0x4f800000, v2
	v_cmp_gt_f32_e32 vcc_lo, 0xf800000, v2
	s_delay_alu instid0(VALU_DEP_2) | instskip(NEXT) | instid1(VALU_DEP_1)
	v_cndmask_b32_e32 v2, v2, v15, vcc_lo
	v_sqrt_f32_e32 v15, v2
	v_nop
	s_delay_alu instid0(TRANS32_DEP_1) | instskip(NEXT) | instid1(VALU_DEP_1)
	v_dual_add_nc_u32 v20, -1, v15 :: v_dual_add_nc_u32 v34, 1, v15
	v_dual_fma_f32 v35, -v20, v15, v2 :: v_dual_fma_f32 v36, -v34, v15, v2
	s_delay_alu instid0(VALU_DEP_1) | instskip(NEXT) | instid1(VALU_DEP_1)
	v_cmp_ge_f32_e64 s0, 0, v35
	v_cndmask_b32_e64 v15, v15, v20, s0
	s_delay_alu instid0(VALU_DEP_3) | instskip(NEXT) | instid1(VALU_DEP_1)
	v_cmp_lt_f32_e64 s0, 0, v36
	v_cndmask_b32_e64 v15, v15, v34, s0
	s_delay_alu instid0(VALU_DEP_1) | instskip(NEXT) | instid1(VALU_DEP_1)
	v_mul_f32_e32 v20, 0x37800000, v15
	v_cndmask_b32_e32 v15, v15, v20, vcc_lo
	v_cmp_class_f32_e64 vcc_lo, v2, 0x260
	s_delay_alu instid0(VALU_DEP_1) | instskip(NEXT) | instid1(VALU_DEP_1)
	v_dual_mov_b32 v20, v13 :: v_dual_cndmask_b32 v2, v15, v2, vcc_lo
	v_cmpx_lt_f32_e64 0x233877aa, |v2|
	s_cbranch_execz .LBB0_42
; %bb.41:                               ;   in Loop: Header=BB0_7 Depth=2
	v_div_scale_f32 v15, null, v2, v2, v31
	v_div_scale_f32 v34, null, v2, v2, v32
	;; [unrolled: 1-line block ×3, first 2 shown]
	s_delay_alu instid0(VALU_DEP_3) | instskip(NEXT) | instid1(VALU_DEP_2)
	v_rcp_f32_e32 v36, v15
	v_rcp_f32_e32 v37, v34
	v_div_scale_f32 v39, vcc_lo, v31, v2, v31
	s_delay_alu instid0(VALU_DEP_2) | instskip(SKIP_1) | instid1(TRANS32_DEP_3)
	v_rcp_f32_e32 v38, v35
	v_div_scale_f32 v42, s0, v32, v2, v32
	v_fma_f32 v40, -v15, v36, 1.0
	s_delay_alu instid0(TRANS32_DEP_2) | instskip(NEXT) | instid1(TRANS32_DEP_1)
	v_fma_f32 v41, -v34, v37, 1.0
	v_fma_f32 v43, -v35, v38, 1.0
	s_delay_alu instid0(VALU_DEP_2) | instskip(SKIP_1) | instid1(VALU_DEP_2)
	v_dual_fmac_f32 v36, v40, v36 :: v_dual_fmac_f32 v37, v41, v37
	v_div_scale_f32 v40, s1, v33, v2, v33
	v_dual_fmac_f32 v38, v43, v38 :: v_dual_mul_f32 v43, v42, v37
	s_delay_alu instid0(VALU_DEP_1) | instskip(NEXT) | instid1(VALU_DEP_1)
	v_dual_mul_f32 v41, v39, v36 :: v_dual_mul_f32 v44, v40, v38
	v_dual_fma_f32 v46, -v34, v43, v42 :: v_dual_fma_f32 v45, -v15, v41, v39
	s_delay_alu instid0(VALU_DEP_1) | instskip(NEXT) | instid1(VALU_DEP_1)
	v_dual_fma_f32 v47, -v35, v44, v40 :: v_dual_fmac_f32 v43, v46, v37
	v_dual_fmac_f32 v41, v45, v36 :: v_dual_fmac_f32 v44, v47, v38
	s_delay_alu instid0(VALU_DEP_1) | instskip(NEXT) | instid1(VALU_DEP_2)
	v_dual_fma_f32 v34, -v34, v43, v42 :: v_dual_fma_f32 v15, -v15, v41, v39
	v_fma_f32 v35, -v35, v44, v40
	s_delay_alu instid0(VALU_DEP_2) | instskip(SKIP_1) | instid1(VALU_DEP_3)
	v_div_fmas_f32 v15, v15, v36, v41
	s_mov_b32 vcc_lo, s0
	v_div_fmas_f32 v34, v34, v37, v43
	s_mov_b32 vcc_lo, s1
	s_delay_alu instid0(VALU_DEP_2) | instskip(SKIP_1) | instid1(VALU_DEP_3)
	v_div_fixup_f32 v31, v15, v2, v31
	v_div_fmas_f32 v35, v35, v38, v44
	v_div_fixup_f32 v32, v34, v2, v32
	s_delay_alu instid0(VALU_DEP_2)
	v_div_fixup_f32 v33, v35, v2, v33
.LBB0_42:                               ;   in Loop: Header=BB0_7 Depth=2
	s_or_b32 exec_lo, exec_lo, s2
	s_clause 0x1
	s_load_b96 s[0:2], s[22:23], 0x14
	s_load_b96 s[4:6], s[22:23], 0x24
	v_dual_fmamk_f32 v2, v14, 0x38d1b717, v29 :: v_dual_fmamk_f32 v15, v12, 0x38d1b717, v10
	v_fmamk_f32 v43, v13, 0x38d1b717, v11
	s_delay_alu instid0(VALU_DEP_2) | instskip(NEXT) | instid1(VALU_DEP_2)
	v_dual_mov_b32 v47, 0 :: v_dual_subrev_f32 v34, s12, v2
	v_dual_mul_f32 v44, s7, v2 :: v_dual_subrev_f32 v36, s14, v43
	s_delay_alu instid0(VALU_DEP_4) | instskip(NEXT) | instid1(VALU_DEP_2)
	v_dual_subrev_f32 v35, s13, v15 :: v_dual_subrev_f32 v37, s16, v2
	v_dual_mul_f32 v45, v34, v34 :: v_dual_fmac_f32 v44, s8, v15
	s_delay_alu instid0(VALU_DEP_1) | instskip(NEXT) | instid1(VALU_DEP_2)
	v_fmac_f32_e32 v45, v35, v35
	v_fmac_f32_e32 v44, s9, v43
	s_wait_kmcnt 0x0
	v_dual_subrev_f32 v38, s0, v15 :: v_dual_subrev_f32 v39, s4, v15
	v_dual_subrev_f32 v40, s24, v2 :: v_dual_subrev_f32 v41, s1, v43
	s_delay_alu instid0(VALU_DEP_2) | instskip(NEXT) | instid1(VALU_DEP_3)
	v_dual_subrev_f32 v42, s5, v43 :: v_dual_mul_f32 v2, v38, v38
	v_dual_mul_f32 v46, v39, v39 :: v_dual_mov_b32 v15, v18
	s_delay_alu instid0(VALU_DEP_2) | instskip(NEXT) | instid1(VALU_DEP_2)
	v_dual_mov_b32 v18, v12 :: v_dual_fmac_f32 v2, v37, v37
	v_fmac_f32_e32 v46, v40, v40
	s_delay_alu instid0(VALU_DEP_2) | instskip(NEXT) | instid1(VALU_DEP_2)
	v_dual_fmac_f32 v45, v36, v36 :: v_dual_fmac_f32 v2, v41, v41
	v_dual_fmac_f32 v46, v42, v42 :: v_dual_subrev_f32 v43, s36, v44
	s_delay_alu instid0(VALU_DEP_2) | instskip(NEXT) | instid1(VALU_DEP_3)
	v_sub_f32_e32 v44, s40, v45
	v_fma_f32 v45, s2, s2, -v2
	s_delay_alu instid0(VALU_DEP_3)
	v_fma_f32 v46, s6, s6, -v46
	s_mov_b32 s2, 0
	s_branch .LBB0_44
.LBB0_43:                               ;   in Loop: Header=BB0_44 Depth=3
	s_add_co_i32 s2, s2, 1
	s_delay_alu instid0(SALU_CYCLE_1)
	s_cmp_lg_u32 s2, 8
	s_cbranch_scc0 .LBB0_5
.LBB0_44:                               ;   Parent Loop BB0_4 Depth=1
                                        ;     Parent Loop BB0_7 Depth=2
                                        ; =>    This Loop Header: Depth=3
                                        ;         Child Loop BB0_46 Depth 4
	s_mov_b32 s4, 8
	s_branch .LBB0_46
.LBB0_45:                               ;   in Loop: Header=BB0_46 Depth=4
	s_or_b32 exec_lo, exec_lo, s1
	v_add_f32_e32 v48, 1.0, v47
	s_delay_alu instid0(VALU_DEP_2) | instskip(SKIP_1) | instid1(SALU_CYCLE_1)
	v_cmp_eq_u32_e32 vcc_lo, 0, v2
	s_add_co_i32 s4, s4, -1
	s_cmp_lg_u32 s4, 0
	s_delay_alu instid0(VALU_DEP_2)
	v_cndmask_b32_e32 v47, v48, v47, vcc_lo
	s_cbranch_scc0 .LBB0_43
.LBB0_46:                               ;   Parent Loop BB0_4 Depth=1
                                        ;     Parent Loop BB0_7 Depth=2
                                        ;       Parent Loop BB0_44 Depth=3
                                        ; =>      This Inner Loop Header: Depth=4
	v_lshrrev_b32_e32 v2, 6, v28
                                        ; implicit-def: $vgpr52
	s_delay_alu instid0(VALU_DEP_1) | instskip(NEXT) | instid1(VALU_DEP_1)
	v_xor_b32_e32 v2, v2, v28
	v_lshlrev_b32_e32 v28, 17, v2
	s_delay_alu instid0(VALU_DEP_1) | instskip(NEXT) | instid1(VALU_DEP_1)
	v_xor_b32_e32 v2, v28, v2
	v_lshrrev_b32_e32 v28, 9, v2
	s_delay_alu instid0(VALU_DEP_1) | instskip(NEXT) | instid1(VALU_DEP_1)
	v_xor_b32_e32 v50, v28, v2
	v_lshrrev_b32_e32 v2, 6, v50
	s_delay_alu instid0(VALU_DEP_1) | instskip(NEXT) | instid1(VALU_DEP_1)
	v_xor_b32_e32 v2, v2, v50
	v_lshlrev_b32_e32 v28, 17, v2
	s_delay_alu instid0(VALU_DEP_1) | instskip(NEXT) | instid1(VALU_DEP_1)
	v_xor_b32_e32 v2, v28, v2
	v_lshrrev_b32_e32 v28, 9, v2
	s_delay_alu instid0(VALU_DEP_1) | instskip(NEXT) | instid1(VALU_DEP_1)
	v_xor_b32_e32 v28, v28, v2
	v_and_or_b32 v2, 0x7fffff, v28, 1.0
	s_delay_alu instid0(VALU_DEP_1) | instskip(NEXT) | instid1(VALU_DEP_1)
	v_add_f32_e32 v2, -1.0, v2
	v_mul_f32_e32 v48, 0x40c90fdb, v2
	s_delay_alu instid0(VALU_DEP_1) | instskip(SKIP_1) | instid1(VALU_DEP_2)
	v_and_b32_e32 v49, 0x7fffffff, v48
	v_cmp_ngt_f32_e64 s5, 0x48000000, |v48|
	v_lshrrev_b32_e32 v51, 23, v49
	v_and_or_b32 v2, 0x7fffff, v49, s15
	s_delay_alu instid0(VALU_DEP_2) | instskip(SKIP_1) | instid1(SALU_CYCLE_1)
	v_add_nc_u32_e32 v53, 0xffffff88, v51
                                        ; implicit-def: $vgpr51
	s_and_saveexec_b32 s0, s5
	s_xor_b32 s6, exec_lo, s0
	s_cbranch_execz .LBB0_48
; %bb.47:                               ;   in Loop: Header=BB0_46 Depth=4
	v_mul_u64_e32 v[54:55], s[34:35], v[2:3]
	v_mov_b32_e32 v57, v3
	v_cmp_lt_u32_e32 vcc_lo, 63, v53
	v_cndmask_b32_e64 v51, 0, 0xffffffc0, vcc_lo
	s_delay_alu instid0(VALU_DEP_4) | instskip(NEXT) | instid1(VALU_DEP_1)
	v_mov_b32_e32 v56, v55
	v_mad_nc_u64_u32 v[56:57], 0x3c439041, v2, v[56:57]
	s_delay_alu instid0(VALU_DEP_1) | instskip(NEXT) | instid1(VALU_DEP_1)
	v_dual_mov_b32 v59, v3 :: v_dual_mov_b32 v58, v57
	v_mad_nc_u64_u32 v[58:59], 0xdb629599, v2, v[58:59]
	s_delay_alu instid0(VALU_DEP_1) | instskip(NEXT) | instid1(VALU_DEP_2)
	v_dual_mov_b32 v61, v3 :: v_dual_mov_b32 v60, v59
	v_cndmask_b32_e32 v54, v58, v54, vcc_lo
	s_delay_alu instid0(VALU_DEP_2) | instskip(NEXT) | instid1(VALU_DEP_1)
	v_mad_nc_u64_u32 v[60:61], 0xf534ddc0, v2, v[60:61]
	v_dual_mov_b32 v63, v3 :: v_dual_mov_b32 v62, v61
	s_delay_alu instid0(VALU_DEP_1) | instskip(NEXT) | instid1(VALU_DEP_1)
	v_mad_nc_u64_u32 v[62:63], 0xfc2757d1, v2, v[62:63]
	v_dual_mov_b32 v65, v3 :: v_dual_mov_b32 v64, v63
	s_delay_alu instid0(VALU_DEP_2) | instskip(NEXT) | instid1(VALU_DEP_2)
	v_cndmask_b32_e32 v61, v62, v58, vcc_lo
	v_mad_nc_u64_u32 v[64:65], 0x4e441529, v2, v[64:65]
	s_delay_alu instid0(VALU_DEP_1) | instskip(NEXT) | instid1(VALU_DEP_1)
	v_dual_mov_b32 v66, v65 :: v_dual_add_nc_u32 v51, v51, v53
	v_cmp_lt_u32_e64 s0, 31, v51
	s_delay_alu instid0(VALU_DEP_1) | instskip(NEXT) | instid1(VALU_DEP_1)
	v_cndmask_b32_e64 v52, 0, 0xffffffe0, s0
	v_dual_mov_b32 v67, v3 :: v_dual_add_nc_u32 v51, v52, v51
	s_delay_alu instid0(VALU_DEP_1) | instskip(SKIP_1) | instid1(VALU_DEP_3)
	v_mad_nc_u64_u32 v[66:67], 0xa2f9836e, v2, v[66:67]
	v_cndmask_b32_e32 v55, v64, v60, vcc_lo
	v_cmp_lt_u32_e64 s1, 31, v51
	s_delay_alu instid0(VALU_DEP_1) | instskip(NEXT) | instid1(VALU_DEP_4)
	v_cndmask_b32_e64 v52, 0, 0xffffffe0, s1
	v_dual_cndmask_b32 v57, v66, v62, vcc_lo :: v_dual_cndmask_b32 v59, v67, v64, vcc_lo
	s_delay_alu instid0(VALU_DEP_2) | instskip(NEXT) | instid1(VALU_DEP_2)
	v_add_nc_u32_e32 v51, v52, v51
	v_dual_cndmask_b32 v52, v60, v56, vcc_lo :: v_dual_cndmask_b32 v56, v57, v55, s0
	s_delay_alu instid0(VALU_DEP_3) | instskip(NEXT) | instid1(VALU_DEP_3)
	v_cndmask_b32_e64 v57, v59, v57, s0
	v_dual_cndmask_b32 v55, v55, v61, s0 :: v_dual_sub_nc_u32 v59, 32, v51
	s_delay_alu instid0(VALU_DEP_3) | instskip(SKIP_1) | instid1(VALU_DEP_3)
	v_cndmask_b32_e64 v60, v61, v52, s0
	v_cmp_eq_u32_e32 vcc_lo, 0, v51
	v_dual_cndmask_b32 v57, v57, v56, s1 :: v_dual_cndmask_b32 v56, v56, v55, s1
	s_delay_alu instid0(VALU_DEP_1) | instskip(NEXT) | instid1(VALU_DEP_1)
	v_alignbit_b32 v61, v57, v56, v59
	v_dual_cndmask_b32 v55, v55, v60, s1 :: v_dual_cndmask_b32 v51, v61, v57, vcc_lo
	s_delay_alu instid0(VALU_DEP_1) | instskip(NEXT) | instid1(VALU_DEP_1)
	v_alignbit_b32 v58, v56, v55, v59
	v_dual_cndmask_b32 v52, v52, v54, s0 :: v_dual_cndmask_b32 v54, v58, v56, vcc_lo
	s_delay_alu instid0(VALU_DEP_3) | instskip(NEXT) | instid1(VALU_DEP_2)
	v_bfe_u32 v56, v51, 29, 1
	v_alignbit_b32 v57, v51, v54, 30
	s_delay_alu instid0(VALU_DEP_2) | instskip(NEXT) | instid1(VALU_DEP_1)
	v_sub_nc_u32_e32 v58, 0, v56
	v_dual_cndmask_b32 v52, v60, v52, s1 :: v_dual_bitop2_b32 v57, v57, v58 bitop3:0x14
	s_delay_alu instid0(VALU_DEP_1) | instskip(NEXT) | instid1(VALU_DEP_1)
	v_alignbit_b32 v59, v55, v52, v59
	v_cndmask_b32_e32 v55, v59, v55, vcc_lo
	s_delay_alu instid0(VALU_DEP_3) | instskip(NEXT) | instid1(VALU_DEP_2)
	v_clz_i32_u32_e32 v59, v57
	v_alignbit_b32 v54, v54, v55, 30
	s_delay_alu instid0(VALU_DEP_2) | instskip(SKIP_1) | instid1(VALU_DEP_2)
	v_min_u32_e32 v59, 32, v59
	v_alignbit_b32 v52, v55, v52, 30
	v_dual_sub_nc_u32 v55, 31, v59 :: v_dual_bitop2_b32 v54, v54, v58 bitop3:0x14
	s_delay_alu instid0(VALU_DEP_2) | instskip(SKIP_1) | instid1(VALU_DEP_3)
	v_dual_lshrrev_b32 v58, 29, v51 :: v_dual_bitop2_b32 v52, v52, v58 bitop3:0x14
	v_lshlrev_b32_e32 v60, 23, v59
	v_alignbit_b32 v57, v57, v54, v55
	s_delay_alu instid0(VALU_DEP_3) | instskip(NEXT) | instid1(VALU_DEP_4)
	v_alignbit_b32 v52, v54, v52, v55
	v_lshlrev_b32_e32 v54, 31, v58
	s_delay_alu instid0(VALU_DEP_2) | instskip(NEXT) | instid1(VALU_DEP_2)
	v_alignbit_b32 v55, v57, v52, 9
	v_dual_lshrrev_b32 v57, 9, v57 :: v_dual_bitop2_b32 v58, 0.5, v54 bitop3:0x54
	v_or_b32_e32 v54, 0x33000000, v54
	s_delay_alu instid0(VALU_DEP_3) | instskip(NEXT) | instid1(VALU_DEP_3)
	v_clz_i32_u32_e32 v61, v55
	v_sub_nc_u32_e32 v58, v58, v60
	s_delay_alu instid0(VALU_DEP_2) | instskip(NEXT) | instid1(VALU_DEP_1)
	v_min_u32_e32 v60, 32, v61
	v_add_lshl_u32 v59, v60, v59, 23
	s_delay_alu instid0(VALU_DEP_3) | instskip(SKIP_1) | instid1(VALU_DEP_2)
	v_or_b32_e32 v57, v57, v58
	v_not_b32_e32 v58, v60
	v_dual_mul_f32 v61, 0x3fc90fda, v57 :: v_dual_sub_nc_u32 v54, v54, v59
	s_delay_alu instid0(VALU_DEP_2) | instskip(NEXT) | instid1(VALU_DEP_2)
	v_alignbit_b32 v52, v55, v52, v58
	v_fma_f32 v55, 0x3fc90fda, v57, -v61
	s_delay_alu instid0(VALU_DEP_1) | instskip(NEXT) | instid1(VALU_DEP_1)
	v_dual_fmac_f32 v55, 0x33a22168, v57 :: v_dual_lshrrev_b32 v52, 9, v52
	v_or_b32_e32 v52, v54, v52
	s_delay_alu instid0(VALU_DEP_1) | instskip(NEXT) | instid1(VALU_DEP_1)
	v_dual_fmac_f32 v55, 0x3fc90fda, v52 :: v_dual_lshrrev_b32 v52, 30, v51
	v_dual_add_f32 v51, v61, v55 :: v_dual_add_nc_u32 v52, v56, v52
.LBB0_48:                               ;   in Loop: Header=BB0_46 Depth=4
	s_or_saveexec_b32 s0, s6
	v_mul_f32_e64 v54, 0x3f22f983, |v48|
	s_delay_alu instid0(VALU_DEP_1)
	v_rndne_f32_e32 v56, v54
	s_xor_b32 exec_lo, exec_lo, s0
; %bb.49:                               ;   in Loop: Header=BB0_46 Depth=4
	s_delay_alu instid0(VALU_DEP_1) | instskip(SKIP_1) | instid1(VALU_DEP_2)
	v_fma_f32 v51, 0xbfc90fda, v56, |v48|
	v_cvt_i32_f32_e32 v52, v56
	v_fmac_f32_e32 v51, 0xb3a22168, v56
	s_delay_alu instid0(VALU_DEP_1)
	v_fmac_f32_e32 v51, 0xa7c234c4, v56
; %bb.50:                               ;   in Loop: Header=BB0_46 Depth=4
	s_or_b32 exec_lo, exec_lo, s0
                                        ; implicit-def: $vgpr55
                                        ; implicit-def: $vgpr54
	s_and_saveexec_b32 s0, s5
	s_delay_alu instid0(SALU_CYCLE_1)
	s_xor_b32 s5, exec_lo, s0
	s_cbranch_execz .LBB0_52
; %bb.51:                               ;   in Loop: Header=BB0_46 Depth=4
	v_mul_u64_e32 v[54:55], s[34:35], v[2:3]
	v_mov_b32_e32 v57, v3
	v_cmp_lt_u32_e32 vcc_lo, 63, v53
	s_delay_alu instid0(VALU_DEP_3) | instskip(SKIP_1) | instid1(VALU_DEP_2)
	v_mov_b32_e32 v56, v55
	v_cndmask_b32_e64 v55, 0, 0xffffffc0, vcc_lo
	v_mad_nc_u64_u32 v[56:57], 0x3c439041, v2, v[56:57]
	s_delay_alu instid0(VALU_DEP_1) | instskip(NEXT) | instid1(VALU_DEP_1)
	v_dual_mov_b32 v59, v3 :: v_dual_mov_b32 v58, v57
	v_mad_nc_u64_u32 v[58:59], 0xdb629599, v2, v[58:59]
	s_delay_alu instid0(VALU_DEP_1) | instskip(NEXT) | instid1(VALU_DEP_2)
	v_dual_mov_b32 v61, v3 :: v_dual_mov_b32 v60, v59
	v_cndmask_b32_e32 v54, v58, v54, vcc_lo
	s_delay_alu instid0(VALU_DEP_2) | instskip(NEXT) | instid1(VALU_DEP_1)
	v_mad_nc_u64_u32 v[60:61], 0xf534ddc0, v2, v[60:61]
	v_dual_mov_b32 v63, v3 :: v_dual_mov_b32 v62, v61
	s_delay_alu instid0(VALU_DEP_1) | instskip(NEXT) | instid1(VALU_DEP_1)
	v_mad_nc_u64_u32 v[62:63], 0xfc2757d1, v2, v[62:63]
	v_dual_mov_b32 v65, v3 :: v_dual_mov_b32 v64, v63
	s_delay_alu instid0(VALU_DEP_2) | instskip(NEXT) | instid1(VALU_DEP_2)
	v_cndmask_b32_e32 v61, v62, v58, vcc_lo
	v_mad_nc_u64_u32 v[64:65], 0x4e441529, v2, v[64:65]
	v_add_nc_u32_e32 v53, v55, v53
	s_delay_alu instid0(VALU_DEP_2) | instskip(NEXT) | instid1(VALU_DEP_2)
	v_dual_mov_b32 v67, v3 :: v_dual_mov_b32 v66, v65
	v_cmp_lt_u32_e64 s0, 31, v53
	s_delay_alu instid0(VALU_DEP_2) | instskip(NEXT) | instid1(VALU_DEP_2)
	v_mad_nc_u64_u32 v[66:67], 0xa2f9836e, v2, v[66:67]
	v_cndmask_b32_e64 v55, 0, 0xffffffe0, s0
	s_delay_alu instid0(VALU_DEP_1) | instskip(NEXT) | instid1(VALU_DEP_3)
	v_dual_cndmask_b32 v55, v64, v60 :: v_dual_add_nc_u32 v2, v55, v53
	v_cndmask_b32_e32 v57, v66, v62, vcc_lo
	s_delay_alu instid0(VALU_DEP_2) | instskip(SKIP_1) | instid1(VALU_DEP_2)
	v_cmp_lt_u32_e64 s1, 31, v2
	v_cndmask_b32_e32 v59, v67, v64, vcc_lo
	v_cndmask_b32_e64 v53, 0, 0xffffffe0, s1
	s_delay_alu instid0(VALU_DEP_1) | instskip(NEXT) | instid1(VALU_DEP_3)
	v_dual_cndmask_b32 v53, v60, v56 :: v_dual_add_nc_u32 v2, v53, v2
	v_dual_cndmask_b32 v56, v57, v55, s0 :: v_dual_cndmask_b32 v57, v59, v57, s0
	s_delay_alu instid0(VALU_DEP_2) | instskip(NEXT) | instid1(VALU_DEP_3)
	v_dual_cndmask_b32 v55, v55, v61, s0 :: v_dual_sub_nc_u32 v59, 32, v2
	v_cndmask_b32_e64 v60, v61, v53, s0
	v_cmp_eq_u32_e32 vcc_lo, 0, v2
	s_delay_alu instid0(VALU_DEP_3) | instskip(NEXT) | instid1(VALU_DEP_1)
	v_dual_cndmask_b32 v57, v57, v56, s1 :: v_dual_cndmask_b32 v56, v56, v55, s1
	v_alignbit_b32 v61, v57, v56, v59
	s_delay_alu instid0(VALU_DEP_1) | instskip(NEXT) | instid1(VALU_DEP_1)
	v_dual_cndmask_b32 v55, v55, v60, s1 :: v_dual_cndmask_b32 v2, v61, v57, vcc_lo
	v_alignbit_b32 v58, v56, v55, v59
	s_delay_alu instid0(VALU_DEP_1) | instskip(NEXT) | instid1(VALU_DEP_3)
	v_dual_cndmask_b32 v53, v53, v54, s0 :: v_dual_cndmask_b32 v54, v58, v56, vcc_lo
	v_bfe_u32 v56, v2, 29, 1
	s_delay_alu instid0(VALU_DEP_2) | instskip(NEXT) | instid1(VALU_DEP_3)
	v_cndmask_b32_e64 v53, v60, v53, s1
	v_alignbit_b32 v57, v2, v54, 30
	s_delay_alu instid0(VALU_DEP_3) | instskip(NEXT) | instid1(VALU_DEP_3)
	v_sub_nc_u32_e32 v58, 0, v56
	v_alignbit_b32 v59, v55, v53, v59
	s_delay_alu instid0(VALU_DEP_1) | instskip(NEXT) | instid1(VALU_DEP_1)
	v_dual_cndmask_b32 v55, v59, v55, vcc_lo :: v_dual_bitop2_b32 v57, v57, v58 bitop3:0x14
	v_clz_i32_u32_e32 v59, v57
	s_delay_alu instid0(VALU_DEP_2) | instskip(SKIP_1) | instid1(VALU_DEP_3)
	v_alignbit_b32 v54, v54, v55, 30
	v_alignbit_b32 v53, v55, v53, 30
	v_min_u32_e32 v59, 32, v59
	s_delay_alu instid0(VALU_DEP_3) | instskip(NEXT) | instid1(VALU_DEP_3)
	v_xor_b32_e32 v54, v54, v58
	v_xor_b32_e32 v53, v53, v58
	v_dual_lshrrev_b32 v58, 29, v2 :: v_dual_lshrrev_b32 v2, 30, v2
	s_delay_alu instid0(VALU_DEP_4) | instskip(NEXT) | instid1(VALU_DEP_1)
	v_dual_sub_nc_u32 v55, 31, v59 :: v_dual_lshlrev_b32 v60, 23, v59
	v_alignbit_b32 v57, v57, v54, v55
	s_delay_alu instid0(VALU_DEP_4) | instskip(NEXT) | instid1(VALU_DEP_4)
	v_alignbit_b32 v53, v54, v53, v55
	v_lshlrev_b32_e32 v54, 31, v58
	s_delay_alu instid0(VALU_DEP_2) | instskip(NEXT) | instid1(VALU_DEP_2)
	v_alignbit_b32 v55, v57, v53, 9
	v_dual_lshrrev_b32 v57, 9, v57 :: v_dual_bitop2_b32 v58, 0.5, v54 bitop3:0x54
	v_or_b32_e32 v54, 0x33000000, v54
	s_delay_alu instid0(VALU_DEP_3) | instskip(NEXT) | instid1(VALU_DEP_3)
	v_clz_i32_u32_e32 v61, v55
	v_sub_nc_u32_e32 v58, v58, v60
	s_delay_alu instid0(VALU_DEP_2) | instskip(NEXT) | instid1(VALU_DEP_1)
	v_min_u32_e32 v60, 32, v61
	v_add_lshl_u32 v59, v60, v59, 23
	s_delay_alu instid0(VALU_DEP_3) | instskip(SKIP_1) | instid1(VALU_DEP_2)
	v_or_b32_e32 v57, v57, v58
	v_not_b32_e32 v58, v60
	v_dual_mul_f32 v61, 0x3fc90fda, v57 :: v_dual_sub_nc_u32 v54, v54, v59
	s_delay_alu instid0(VALU_DEP_2) | instskip(NEXT) | instid1(VALU_DEP_2)
	v_alignbit_b32 v53, v55, v53, v58
	v_fma_f32 v55, 0x3fc90fda, v57, -v61
	s_delay_alu instid0(VALU_DEP_2) | instskip(NEXT) | instid1(VALU_DEP_2)
	v_lshrrev_b32_e32 v53, 9, v53
	v_fmac_f32_e32 v55, 0x33a22168, v57
	s_delay_alu instid0(VALU_DEP_2) | instskip(NEXT) | instid1(VALU_DEP_1)
	v_or_b32_e32 v53, v54, v53
	v_fmac_f32_e32 v55, 0x3fc90fda, v53
	s_delay_alu instid0(VALU_DEP_1)
	v_dual_add_f32 v54, v61, v55 :: v_dual_add_nc_u32 v55, v56, v2
                                        ; implicit-def: $vgpr56
	s_and_not1_saveexec_b32 s0, s5
	s_cbranch_execnz .LBB0_53
	s_branch .LBB0_54
.LBB0_52:                               ;   in Loop: Header=BB0_46 Depth=4
	s_and_not1_saveexec_b32 s0, s5
.LBB0_53:                               ;   in Loop: Header=BB0_46 Depth=4
	v_fma_f32 v54, 0xbfc90fda, v56, |v48|
	v_cvt_i32_f32_e32 v55, v56
	s_delay_alu instid0(VALU_DEP_2) | instskip(NEXT) | instid1(VALU_DEP_1)
	v_fmac_f32_e32 v54, 0xb3a22168, v56
	v_fmac_f32_e32 v54, 0xa7c234c4, v56
.LBB0_54:                               ;   in Loop: Header=BB0_46 Depth=4
	s_or_b32 exec_lo, exec_lo, s0
	v_and_or_b32 v2, 0x7fffff, v50, 1.0
	s_mov_b32 s1, exec_lo
	v_dual_lshlrev_b32 v55, 30, v55 :: v_dual_bitop2_b32 v59, 1, v55 bitop3:0x40
	s_delay_alu instid0(VALU_DEP_2) | instskip(NEXT) | instid1(VALU_DEP_2)
	v_add_f32_e32 v2, -1.0, v2
	v_and_b32_e32 v55, 0x80000000, v55
	s_delay_alu instid0(VALU_DEP_2) | instskip(SKIP_1) | instid1(VALU_DEP_2)
	v_mul_f32_e32 v50, 0x4f800000, v2
	v_cmp_gt_f32_e32 vcc_lo, 0xf800000, v2
	v_cndmask_b32_e32 v2, v2, v50, vcc_lo
	s_delay_alu instid0(VALU_DEP_1) | instskip(SKIP_1) | instid1(TRANS32_DEP_1)
	v_sqrt_f32_e32 v50, v2
	v_nop
	v_dual_add_nc_u32 v53, -1, v50 :: v_dual_add_nc_u32 v56, 1, v50
	s_delay_alu instid0(VALU_DEP_1) | instskip(NEXT) | instid1(VALU_DEP_1)
	v_dual_fma_f32 v57, -v53, v50, v2 :: v_dual_fma_f32 v58, -v56, v50, v2
	v_cmp_ge_f32_e64 s0, 0, v57
	v_mul_f32_e32 v57, v54, v54
	s_delay_alu instid0(VALU_DEP_2) | instskip(NEXT) | instid1(VALU_DEP_4)
	v_cndmask_b32_e64 v50, v50, v53, s0
	v_cmp_lt_f32_e64 s0, 0, v58
	s_delay_alu instid0(VALU_DEP_1) | instskip(SKIP_1) | instid1(VALU_DEP_2)
	v_cndmask_b32_e64 v50, v50, v56, s0
	v_dual_lshlrev_b32 v52, 30, v52 :: v_dual_bitop2_b32 v56, 1, v52 bitop3:0x40
	v_mul_f32_e32 v53, 0x37800000, v50
	s_delay_alu instid0(VALU_DEP_1) | instskip(SKIP_3) | instid1(VALU_DEP_4)
	v_cndmask_b32_e32 v50, v50, v53, vcc_lo
	v_cmp_class_f32_e64 vcc_lo, v2, 0x260
	v_mul_f32_e32 v53, v51, v51
	v_fmaak_f32 v61, s19, v57, 0x3c0881c4
	v_cndmask_b32_e32 v2, v50, v2, vcc_lo
	v_fmaak_f32 v62, s27, v57, 0xbab64f3b
	s_delay_alu instid0(VALU_DEP_3) | instskip(NEXT) | instid1(VALU_DEP_3)
	v_fmaak_f32 v61, v57, v61, 0xbe2aaa9d
	v_fma_f32 v50, -v2, v2, 1.0
	s_delay_alu instid0(VALU_DEP_2) | instskip(NEXT) | instid1(VALU_DEP_2)
	v_dual_fmaak_f32 v62, v57, v62, 0x3d2aabf7 :: v_dual_mul_f32 v61, v57, v61
	v_mul_f32_e32 v58, 0x4f800000, v50
	v_cmp_gt_f32_e32 vcc_lo, 0xf800000, v50
	v_xor_b32_e32 v49, v49, v48
	s_delay_alu instid0(VALU_DEP_4) | instskip(NEXT) | instid1(VALU_DEP_4)
	v_fmaak_f32 v62, v57, v62, 0xbf000004
	v_cndmask_b32_e32 v50, v50, v58, vcc_lo
	s_delay_alu instid0(VALU_DEP_2) | instskip(NEXT) | instid1(VALU_DEP_2)
	v_fma_f32 v57, v57, v62, 1.0
	v_sqrt_f32_e32 v63, v50
	v_nop
	s_delay_alu instid0(TRANS32_DEP_1) | instskip(NEXT) | instid1(VALU_DEP_1)
	v_dual_fmaak_f32 v58, s19, v53, 0x3c0881c4 :: v_dual_add_nc_u32 v65, 1, v63
	v_fmaak_f32 v58, v53, v58, 0xbe2aaa9d
	s_delay_alu instid0(VALU_DEP_1) | instskip(SKIP_1) | instid1(VALU_DEP_2)
	v_dual_add_nc_u32 v64, -1, v63 :: v_dual_mul_f32 v58, v53, v58
	v_fmaak_f32 v60, s27, v53, 0xbab64f3b
	v_dual_fma_f32 v66, -v64, v63, v50 :: v_dual_fmac_f32 v51, v51, v58
	s_delay_alu instid0(VALU_DEP_2) | instskip(SKIP_1) | instid1(VALU_DEP_3)
	v_fmaak_f32 v60, v53, v60, 0x3d2aabf7
	v_fma_f32 v58, -v65, v63, v50
	v_cmp_ge_f32_e64 s0, 0, v66
	v_fmac_f32_e32 v54, v54, v61
	s_delay_alu instid0(VALU_DEP_4) | instskip(NEXT) | instid1(VALU_DEP_1)
	v_fmaak_f32 v60, v53, v60, 0xbf000004
	v_fma_f32 v53, v53, v60, 1.0
	s_delay_alu instid0(VALU_DEP_4) | instskip(SKIP_1) | instid1(VALU_DEP_1)
	v_cndmask_b32_e64 v60, v63, v64, s0
	v_cmp_eq_u32_e64 s0, 0, v56
	v_cndmask_b32_e64 v51, -v51, v53, s0
	v_cmp_lt_f32_e64 s0, 0, v58
	s_delay_alu instid0(VALU_DEP_1) | instskip(SKIP_1) | instid1(VALU_DEP_1)
	v_cndmask_b32_e64 v53, v60, v65, s0
	v_cmp_eq_u32_e64 s0, 0, v59
	v_cndmask_b32_e64 v54, v57, v54, s0
	v_bitop3_b32 v51, v52, v51, 0x80000000 bitop3:0x6c
	s_delay_alu instid0(VALU_DEP_4) | instskip(SKIP_1) | instid1(VALU_DEP_4)
	v_mul_f32_e32 v52, 0x37800000, v53
	v_cmp_class_f32_e64 s0, v48, 0x1f8
	v_xor3_b32 v49, v49, v55, v54
	s_delay_alu instid0(VALU_DEP_2) | instskip(NEXT) | instid1(VALU_DEP_4)
	v_cndmask_b32_e64 v48, 0x7fc00000, v51, s0
	v_cndmask_b32_e32 v51, v53, v52, vcc_lo
	v_cmp_class_f32_e64 vcc_lo, v50, 0x260
	s_delay_alu instid0(VALU_DEP_4) | instskip(NEXT) | instid1(VALU_DEP_3)
	v_cndmask_b32_e64 v52, 0x7fc00000, v49, s0
	v_dual_mul_f32 v49, v2, v48 :: v_dual_cndmask_b32 v48, v51, v50
	s_delay_alu instid0(VALU_DEP_2) | instskip(NEXT) | instid1(VALU_DEP_2)
	v_mul_f32_e32 v2, v2, v52
	v_pk_mul_f32 v[50:51], v[18:19], v[48:49]
	v_pk_mul_f32 v[52:53], v[14:15], v[48:49]
	;; [unrolled: 1-line block ×3, first 2 shown]
	s_delay_alu instid0(VALU_DEP_2) | instskip(NEXT) | instid1(VALU_DEP_1)
	v_dual_fma_f32 v51, v32, v2, v51 :: v_dual_fma_f32 v48, v31, v2, v53
	v_dual_add_f32 v49, v50, v51 :: v_dual_add_f32 v48, v52, v48
	s_delay_alu instid0(VALU_DEP_1) | instskip(NEXT) | instid1(VALU_DEP_1)
	v_dual_mov_b32 v51, 0x5bb1a2bc :: v_dual_mul_f32 v52, v35, v49
	v_dual_fma_f32 v2, v33, v2, v55 :: v_dual_fmac_f32 v52, v34, v48
	s_delay_alu instid0(VALU_DEP_1) | instskip(NEXT) | instid1(VALU_DEP_1)
	v_dual_add_f32 v50, v54, v2 :: v_dual_mov_b32 v2, 0
	v_fmac_f32_e32 v52, v36, v50
	s_delay_alu instid0(VALU_DEP_1) | instskip(NEXT) | instid1(VALU_DEP_1)
	v_fma_f32 v53, v52, v52, v44
	v_cmpx_lt_f32_e32 0, v53
	s_cbranch_execz .LBB0_56
; %bb.55:                               ;   in Loop: Header=BB0_46 Depth=4
	v_mul_f32_e32 v2, 0x4f800000, v53
	v_cmp_gt_f32_e32 vcc_lo, 0xf800000, v53
	s_delay_alu instid0(VALU_DEP_2) | instskip(NEXT) | instid1(VALU_DEP_1)
	v_cndmask_b32_e32 v2, v53, v2, vcc_lo
	v_sqrt_f32_e32 v51, v2
	v_nop
	s_delay_alu instid0(TRANS32_DEP_1) | instskip(NEXT) | instid1(VALU_DEP_1)
	v_dual_add_nc_u32 v53, -1, v51 :: v_dual_add_nc_u32 v54, 1, v51
	v_dual_fma_f32 v55, -v53, v51, v2 :: v_dual_fma_f32 v56, -v54, v51, v2
	s_delay_alu instid0(VALU_DEP_1) | instskip(NEXT) | instid1(VALU_DEP_1)
	v_cmp_ge_f32_e64 s0, 0, v55
	v_cndmask_b32_e64 v51, v51, v53, s0
	s_delay_alu instid0(VALU_DEP_3) | instskip(NEXT) | instid1(VALU_DEP_1)
	v_cmp_lt_f32_e64 s0, 0, v56
	v_cndmask_b32_e64 v51, v51, v54, s0
	s_delay_alu instid0(VALU_DEP_1) | instskip(NEXT) | instid1(VALU_DEP_1)
	v_mul_f32_e32 v53, 0x37800000, v51
	v_cndmask_b32_e32 v51, v51, v53, vcc_lo
	v_cmp_class_f32_e64 vcc_lo, v2, 0x260
	s_delay_alu instid0(VALU_DEP_2) | instskip(NEXT) | instid1(VALU_DEP_1)
	v_cndmask_b32_e32 v2, v51, v2, vcc_lo
	v_sub_f32_e64 v51, -v52, v2
	s_delay_alu instid0(VALU_DEP_1) | instskip(SKIP_2) | instid1(SALU_CYCLE_1)
	v_cmp_lt_f32_e32 vcc_lo, 0, v51
	v_cmp_gt_f32_e64 s0, 0x5bb1a2bc, v51
	s_and_b32 vcc_lo, vcc_lo, s0
	v_cndmask_b32_e64 v2, 0, 1, vcc_lo
	v_cndmask_b32_e32 v51, 0x5bb1a2bc, v51, vcc_lo
.LBB0_56:                               ;   in Loop: Header=BB0_46 Depth=4
	s_or_b32 exec_lo, exec_lo, s1
	v_mul_f32_e32 v52, v38, v49
	s_mov_b32 s1, exec_lo
	s_delay_alu instid0(VALU_DEP_1) | instskip(NEXT) | instid1(VALU_DEP_1)
	v_fmac_f32_e32 v52, v37, v48
	v_fmac_f32_e32 v52, v41, v50
	s_delay_alu instid0(VALU_DEP_1) | instskip(NEXT) | instid1(VALU_DEP_1)
	v_fma_f32 v53, v52, v52, v45
	v_cmpx_lt_f32_e32 0, v53
	s_cbranch_execz .LBB0_58
; %bb.57:                               ;   in Loop: Header=BB0_46 Depth=4
	v_mul_f32_e32 v54, 0x4f800000, v53
	v_cmp_gt_f32_e32 vcc_lo, 0xf800000, v53
	s_delay_alu instid0(VALU_DEP_2) | instskip(NEXT) | instid1(VALU_DEP_1)
	v_cndmask_b32_e32 v53, v53, v54, vcc_lo
	v_sqrt_f32_e32 v54, v53
	v_nop
	s_delay_alu instid0(TRANS32_DEP_1) | instskip(NEXT) | instid1(VALU_DEP_1)
	v_dual_add_nc_u32 v55, -1, v54 :: v_dual_add_nc_u32 v56, 1, v54
	v_fma_f32 v57, -v55, v54, v53
	s_delay_alu instid0(VALU_DEP_1) | instskip(NEXT) | instid1(VALU_DEP_1)
	v_cmp_ge_f32_e64 s0, 0, v57
	v_dual_fma_f32 v58, -v56, v54, v53 :: v_dual_cndmask_b32 v54, v54, v55, s0
	s_delay_alu instid0(VALU_DEP_1) | instskip(NEXT) | instid1(VALU_DEP_1)
	v_cmp_lt_f32_e64 s0, 0, v58
	v_cndmask_b32_e64 v54, v54, v56, s0
	s_delay_alu instid0(VALU_DEP_1) | instskip(NEXT) | instid1(VALU_DEP_1)
	v_mul_f32_e32 v55, 0x37800000, v54
	v_cndmask_b32_e32 v54, v54, v55, vcc_lo
	v_cmp_class_f32_e64 vcc_lo, v53, 0x260
	s_delay_alu instid0(VALU_DEP_2) | instskip(NEXT) | instid1(VALU_DEP_1)
	v_cndmask_b32_e32 v53, v54, v53, vcc_lo
	v_sub_f32_e64 v52, -v52, v53
	s_delay_alu instid0(VALU_DEP_1) | instskip(SKIP_2) | instid1(SALU_CYCLE_1)
	v_cmp_lt_f32_e32 vcc_lo, 0, v52
	v_cmp_lt_f32_e64 s0, v52, v51
	s_and_b32 vcc_lo, vcc_lo, s0
	v_cndmask_b32_e64 v2, v2, 1, vcc_lo
	v_cndmask_b32_e32 v51, v51, v52, vcc_lo
.LBB0_58:                               ;   in Loop: Header=BB0_46 Depth=4
	s_or_b32 exec_lo, exec_lo, s1
	v_mul_f32_e32 v52, v39, v49
	s_mov_b32 s1, exec_lo
	s_delay_alu instid0(VALU_DEP_1) | instskip(NEXT) | instid1(VALU_DEP_1)
	v_fmac_f32_e32 v52, v40, v48
	v_fmac_f32_e32 v52, v42, v50
	s_delay_alu instid0(VALU_DEP_1) | instskip(NEXT) | instid1(VALU_DEP_1)
	v_fma_f32 v53, v52, v52, v46
	v_cmpx_lt_f32_e32 0, v53
	s_cbranch_execz .LBB0_60
; %bb.59:                               ;   in Loop: Header=BB0_46 Depth=4
	v_mul_f32_e32 v54, 0x4f800000, v53
	v_cmp_gt_f32_e32 vcc_lo, 0xf800000, v53
	s_delay_alu instid0(VALU_DEP_2) | instskip(NEXT) | instid1(VALU_DEP_1)
	v_cndmask_b32_e32 v53, v53, v54, vcc_lo
	v_sqrt_f32_e32 v54, v53
	v_nop
	s_delay_alu instid0(TRANS32_DEP_1) | instskip(NEXT) | instid1(VALU_DEP_1)
	v_dual_add_nc_u32 v55, -1, v54 :: v_dual_add_nc_u32 v56, 1, v54
	v_fma_f32 v57, -v55, v54, v53
	s_delay_alu instid0(VALU_DEP_1) | instskip(NEXT) | instid1(VALU_DEP_1)
	v_cmp_ge_f32_e64 s0, 0, v57
	v_dual_fma_f32 v58, -v56, v54, v53 :: v_dual_cndmask_b32 v54, v54, v55, s0
	s_delay_alu instid0(VALU_DEP_1) | instskip(NEXT) | instid1(VALU_DEP_1)
	v_cmp_lt_f32_e64 s0, 0, v58
	v_cndmask_b32_e64 v54, v54, v56, s0
	s_delay_alu instid0(VALU_DEP_1) | instskip(NEXT) | instid1(VALU_DEP_1)
	v_mul_f32_e32 v55, 0x37800000, v54
	v_cndmask_b32_e32 v54, v54, v55, vcc_lo
	v_cmp_class_f32_e64 vcc_lo, v53, 0x260
	s_delay_alu instid0(VALU_DEP_2) | instskip(NEXT) | instid1(VALU_DEP_1)
	v_cndmask_b32_e32 v53, v54, v53, vcc_lo
	v_sub_f32_e64 v52, -v52, v53
	s_delay_alu instid0(VALU_DEP_1) | instskip(SKIP_2) | instid1(SALU_CYCLE_1)
	v_cmp_lt_f32_e32 vcc_lo, 0, v52
	v_cmp_lt_f32_e64 s0, v52, v51
	s_and_b32 vcc_lo, vcc_lo, s0
	v_cndmask_b32_e64 v2, v2, 1, vcc_lo
	v_cndmask_b32_e32 v51, v51, v52, vcc_lo
.LBB0_60:                               ;   in Loop: Header=BB0_46 Depth=4
	s_or_b32 exec_lo, exec_lo, s1
	v_mul_f32_e32 v49, s8, v49
	s_mov_b32 s1, exec_lo
	s_delay_alu instid0(VALU_DEP_1) | instskip(NEXT) | instid1(VALU_DEP_1)
	v_fmac_f32_e32 v49, s7, v48
	v_fmac_f32_e32 v49, s9, v50
	s_delay_alu instid0(VALU_DEP_1)
	v_cmpx_ngt_f32_e64 0x233877aa, |v49|
	s_cbranch_execz .LBB0_45
; %bb.61:                               ;   in Loop: Header=BB0_46 Depth=4
	v_div_scale_f32 v48, null, v49, v49, -v43
	v_div_scale_f32 v53, vcc_lo, -v43, v49, -v43
	s_delay_alu instid0(VALU_DEP_2) | instskip(SKIP_1) | instid1(TRANS32_DEP_1)
	v_rcp_f32_e32 v50, v48
	v_nop
	v_fma_f32 v52, -v48, v50, 1.0
	s_delay_alu instid0(VALU_DEP_1) | instskip(NEXT) | instid1(VALU_DEP_1)
	v_fmac_f32_e32 v50, v52, v50
	v_mul_f32_e32 v52, v53, v50
	s_delay_alu instid0(VALU_DEP_1) | instskip(NEXT) | instid1(VALU_DEP_1)
	v_fma_f32 v54, -v48, v52, v53
	v_fmac_f32_e32 v52, v54, v50
	s_delay_alu instid0(VALU_DEP_1) | instskip(NEXT) | instid1(VALU_DEP_1)
	v_fma_f32 v48, -v48, v52, v53
	v_div_fmas_f32 v48, v48, v50, v52
	s_delay_alu instid0(VALU_DEP_1) | instskip(NEXT) | instid1(VALU_DEP_1)
	v_div_fixup_f32 v48, v48, v49, -v43
	v_cmp_lt_f32_e32 vcc_lo, 0, v48
	v_cmp_lt_f32_e64 s0, v48, v51
	s_and_b32 s0, vcc_lo, s0
	s_delay_alu instid0(SALU_CYCLE_1)
	v_cndmask_b32_e64 v2, v2, 1, s0
	s_branch .LBB0_45
.LBB0_62:
	v_mov_b64_e32 v[0:1], 0
	v_mov_b32_e32 v22, 0
.LBB0_63:
	s_mul_i32 s3, s3, s3
	s_delay_alu instid0(SALU_CYCLE_1)
	s_cvt_f32_u32 s2, s3
	s_delay_alu instid0(VALU_DEP_1) | instid1(SALU_CYCLE_3)
	v_div_scale_f32 v2, null, s2, s2, v22
	s_delay_alu instid0(VALU_DEP_3) | instskip(NEXT) | instid1(VALU_DEP_4)
	v_div_scale_f32 v3, null, s2, s2, v1
	v_div_scale_f32 v5, null, s2, s2, v0
	s_delay_alu instid0(VALU_DEP_3) | instskip(NEXT) | instid1(VALU_DEP_2)
	v_rcp_f32_e32 v4, v2
	v_rcp_f32_e32 v6, v3
	v_div_scale_f32 v9, vcc_lo, v22, s2, v22
	s_delay_alu instid0(VALU_DEP_2) | instskip(SKIP_1) | instid1(TRANS32_DEP_3)
	v_rcp_f32_e32 v7, v5
	v_div_scale_f32 v11, s0, v1, s2, v1
	v_fma_f32 v8, -v2, v4, 1.0
	s_delay_alu instid0(TRANS32_DEP_2) | instskip(NEXT) | instid1(VALU_DEP_1)
	v_fma_f32 v10, -v3, v6, 1.0
	v_dual_fmac_f32 v4, v8, v4 :: v_dual_fmac_f32 v6, v10, v6
	s_delay_alu instid0(TRANS32_DEP_1) | instskip(SKIP_1) | instid1(VALU_DEP_2)
	v_fma_f32 v8, -v5, v7, 1.0
	v_div_scale_f32 v10, s1, v0, s2, v0
	v_dual_mul_f32 v12, v9, v4 :: v_dual_fmac_f32 v7, v8, v7
	s_delay_alu instid0(VALU_DEP_1) | instskip(NEXT) | instid1(VALU_DEP_1)
	v_dual_mul_f32 v8, v11, v6 :: v_dual_fma_f32 v13, -v2, v12, v9
	v_dual_mul_f32 v14, v10, v7 :: v_dual_fma_f32 v15, -v3, v8, v11
	s_delay_alu instid0(VALU_DEP_2) | instskip(NEXT) | instid1(VALU_DEP_2)
	v_fmac_f32_e32 v12, v13, v4
	v_fma_f32 v13, -v5, v14, v10
	s_delay_alu instid0(VALU_DEP_1) | instskip(NEXT) | instid1(VALU_DEP_3)
	v_dual_fmac_f32 v8, v15, v6 :: v_dual_fmac_f32 v14, v13, v7
	v_fma_f32 v2, -v2, v12, v9
	s_delay_alu instid0(VALU_DEP_2) | instskip(NEXT) | instid1(VALU_DEP_2)
	v_fma_f32 v3, -v3, v8, v11
	v_div_fmas_f32 v2, v2, v4, v12
	s_mov_b32 vcc_lo, s0
	v_fma_f32 v4, -v5, v14, v10
	s_delay_alu instid0(VALU_DEP_3) | instskip(SKIP_2) | instid1(VALU_DEP_2)
	v_div_fmas_f32 v3, v3, v6, v8
	s_mov_b32 vcc_lo, s1
	v_div_fixup_f32 v2, v2, s2, v22
	v_div_fixup_f32 v1, v3, s2, v1
	v_div_fmas_f32 v3, v4, v7, v14
	s_delay_alu instid0(VALU_DEP_2) | instskip(NEXT) | instid1(VALU_DEP_2)
	v_dual_mul_f32 v2, 0x437f8000, v2 :: v_dual_mul_f32 v1, 0x437f8000, v1
	v_div_fixup_f32 v0, v3, s2, v0
	s_delay_alu instid0(VALU_DEP_2) | instskip(SKIP_1) | instid1(VALU_DEP_4)
	v_cvt_i32_f32_e32 v2, v2
	v_lshl_add_u32 v3, v17, 1, v17
	v_cvt_i32_f32_e32 v1, v1
	s_delay_alu instid0(VALU_DEP_4) | instskip(NEXT) | instid1(VALU_DEP_4)
	v_mul_f32_e32 v0, 0x437f8000, v0
	v_med3_i32 v2, v2, 0, 0xff
	s_delay_alu instid0(VALU_DEP_3) | instskip(NEXT) | instid1(VALU_DEP_3)
	v_med3_i32 v1, v1, 0, 0xff
	v_cvt_i32_f32_e32 v0, v0
	s_delay_alu instid0(VALU_DEP_2) | instskip(NEXT) | instid1(VALU_DEP_2)
	v_lshlrev_b16 v1, 8, v1
	v_med3_i32 v0, v0, 0, 0xff
	s_delay_alu instid0(VALU_DEP_2)
	v_bitop3_b16 v1, v2, v1, 0xff bitop3:0xec
	s_clause 0x1
	global_store_b8 v3, v0, s[20:21] offset:2
	global_store_b16 v3, v1, s[20:21]
.LBB0_64:
	s_sendmsg sendmsg(MSG_DEALLOC_VGPRS)
	s_endpgm
	.section	.rodata,"a",@progbits
	.p2align	6, 0x0
	.amdhsa_kernel _Z13render_kernelPhPK7_Sphere6_Planeiii
		.amdhsa_group_segment_fixed_size 0
		.amdhsa_private_segment_fixed_size 0
		.amdhsa_kernarg_size 312
		.amdhsa_user_sgpr_count 2
		.amdhsa_user_sgpr_dispatch_ptr 0
		.amdhsa_user_sgpr_queue_ptr 0
		.amdhsa_user_sgpr_kernarg_segment_ptr 1
		.amdhsa_user_sgpr_dispatch_id 0
		.amdhsa_user_sgpr_kernarg_preload_length 0
		.amdhsa_user_sgpr_kernarg_preload_offset 0
		.amdhsa_user_sgpr_private_segment_size 0
		.amdhsa_wavefront_size32 1
		.amdhsa_uses_dynamic_stack 0
		.amdhsa_enable_private_segment 0
		.amdhsa_system_sgpr_workgroup_id_x 1
		.amdhsa_system_sgpr_workgroup_id_y 1
		.amdhsa_system_sgpr_workgroup_id_z 0
		.amdhsa_system_sgpr_workgroup_info 0
		.amdhsa_system_vgpr_workitem_id 1
		.amdhsa_next_free_vgpr 68
		.amdhsa_next_free_sgpr 43
		.amdhsa_named_barrier_count 0
		.amdhsa_reserve_vcc 1
		.amdhsa_float_round_mode_32 0
		.amdhsa_float_round_mode_16_64 0
		.amdhsa_float_denorm_mode_32 3
		.amdhsa_float_denorm_mode_16_64 3
		.amdhsa_fp16_overflow 0
		.amdhsa_memory_ordered 1
		.amdhsa_forward_progress 1
		.amdhsa_inst_pref_size 71
		.amdhsa_round_robin_scheduling 0
		.amdhsa_exception_fp_ieee_invalid_op 0
		.amdhsa_exception_fp_denorm_src 0
		.amdhsa_exception_fp_ieee_div_zero 0
		.amdhsa_exception_fp_ieee_overflow 0
		.amdhsa_exception_fp_ieee_underflow 0
		.amdhsa_exception_fp_ieee_inexact 0
		.amdhsa_exception_int_div_zero 0
	.end_amdhsa_kernel
	.text
.Lfunc_end0:
	.size	_Z13render_kernelPhPK7_Sphere6_Planeiii, .Lfunc_end0-_Z13render_kernelPhPK7_Sphere6_Planeiii
                                        ; -- End function
	.set _Z13render_kernelPhPK7_Sphere6_Planeiii.num_vgpr, 68
	.set _Z13render_kernelPhPK7_Sphere6_Planeiii.num_agpr, 0
	.set _Z13render_kernelPhPK7_Sphere6_Planeiii.numbered_sgpr, 43
	.set _Z13render_kernelPhPK7_Sphere6_Planeiii.num_named_barrier, 0
	.set _Z13render_kernelPhPK7_Sphere6_Planeiii.private_seg_size, 0
	.set _Z13render_kernelPhPK7_Sphere6_Planeiii.uses_vcc, 1
	.set _Z13render_kernelPhPK7_Sphere6_Planeiii.uses_flat_scratch, 0
	.set _Z13render_kernelPhPK7_Sphere6_Planeiii.has_dyn_sized_stack, 0
	.set _Z13render_kernelPhPK7_Sphere6_Planeiii.has_recursion, 0
	.set _Z13render_kernelPhPK7_Sphere6_Planeiii.has_indirect_call, 0
	.section	.AMDGPU.csdata,"",@progbits
; Kernel info:
; codeLenInByte = 9004
; TotalNumSgprs: 45
; NumVgprs: 68
; ScratchSize: 0
; MemoryBound: 0
; FloatMode: 240
; IeeeMode: 1
; LDSByteSize: 0 bytes/workgroup (compile time only)
; SGPRBlocks: 0
; VGPRBlocks: 4
; NumSGPRsForWavesPerEU: 45
; NumVGPRsForWavesPerEU: 68
; NamedBarCnt: 0
; Occupancy: 12
; WaveLimiterHint : 0
; COMPUTE_PGM_RSRC2:SCRATCH_EN: 0
; COMPUTE_PGM_RSRC2:USER_SGPR: 2
; COMPUTE_PGM_RSRC2:TRAP_HANDLER: 0
; COMPUTE_PGM_RSRC2:TGID_X_EN: 1
; COMPUTE_PGM_RSRC2:TGID_Y_EN: 1
; COMPUTE_PGM_RSRC2:TGID_Z_EN: 0
; COMPUTE_PGM_RSRC2:TIDIG_COMP_CNT: 1
	.text
	.p2alignl 7, 3214868480
	.fill 96, 4, 3214868480
	.section	.AMDGPU.gpr_maximums,"",@progbits
	.set amdgpu.max_num_vgpr, 0
	.set amdgpu.max_num_agpr, 0
	.set amdgpu.max_num_sgpr, 0
	.text
	.type	__hip_cuid_ae043ba6c44ec1eb,@object ; @__hip_cuid_ae043ba6c44ec1eb
	.section	.bss,"aw",@nobits
	.globl	__hip_cuid_ae043ba6c44ec1eb
__hip_cuid_ae043ba6c44ec1eb:
	.byte	0                               ; 0x0
	.size	__hip_cuid_ae043ba6c44ec1eb, 1

	.ident	"AMD clang version 22.0.0git (https://github.com/RadeonOpenCompute/llvm-project roc-7.2.4 26084 f58b06dce1f9c15707c5f808fd002e18c2accf7e)"
	.section	".note.GNU-stack","",@progbits
	.addrsig
	.addrsig_sym __hip_cuid_ae043ba6c44ec1eb
	.amdgpu_metadata
---
amdhsa.kernels:
  - .args:
      - .address_space:  global
        .offset:         0
        .size:           8
        .value_kind:     global_buffer
      - .address_space:  global
        .offset:         8
        .size:           8
        .value_kind:     global_buffer
      - .offset:         16
        .size:           24
        .value_kind:     by_value
      - .offset:         40
        .size:           4
        .value_kind:     by_value
      - .offset:         44
        .size:           4
        .value_kind:     by_value
      - .offset:         48
        .size:           4
        .value_kind:     by_value
      - .offset:         56
        .size:           4
        .value_kind:     hidden_block_count_x
      - .offset:         60
        .size:           4
        .value_kind:     hidden_block_count_y
      - .offset:         64
        .size:           4
        .value_kind:     hidden_block_count_z
      - .offset:         68
        .size:           2
        .value_kind:     hidden_group_size_x
      - .offset:         70
        .size:           2
        .value_kind:     hidden_group_size_y
      - .offset:         72
        .size:           2
        .value_kind:     hidden_group_size_z
      - .offset:         74
        .size:           2
        .value_kind:     hidden_remainder_x
      - .offset:         76
        .size:           2
        .value_kind:     hidden_remainder_y
      - .offset:         78
        .size:           2
        .value_kind:     hidden_remainder_z
      - .offset:         96
        .size:           8
        .value_kind:     hidden_global_offset_x
      - .offset:         104
        .size:           8
        .value_kind:     hidden_global_offset_y
      - .offset:         112
        .size:           8
        .value_kind:     hidden_global_offset_z
      - .offset:         120
        .size:           2
        .value_kind:     hidden_grid_dims
    .group_segment_fixed_size: 0
    .kernarg_segment_align: 8
    .kernarg_segment_size: 312
    .language:       OpenCL C
    .language_version:
      - 2
      - 0
    .max_flat_workgroup_size: 1024
    .name:           _Z13render_kernelPhPK7_Sphere6_Planeiii
    .private_segment_fixed_size: 0
    .sgpr_count:     45
    .sgpr_spill_count: 0
    .symbol:         _Z13render_kernelPhPK7_Sphere6_Planeiii.kd
    .uniform_work_group_size: 1
    .uses_dynamic_stack: false
    .vgpr_count:     68
    .vgpr_spill_count: 0
    .wavefront_size: 32
amdhsa.target:   amdgcn-amd-amdhsa--gfx1250
amdhsa.version:
  - 1
  - 2
...

	.end_amdgpu_metadata
